;; amdgpu-corpus repo=ROCm/rocFFT kind=compiled arch=gfx950 opt=O3
	.text
	.amdgcn_target "amdgcn-amd-amdhsa--gfx950"
	.amdhsa_code_object_version 6
	.protected	fft_rtc_back_len1782_factors_11_3_3_3_3_2_wgs_99_tpt_99_halfLds_sp_op_CI_CI_unitstride_sbrr_C2R_dirReg ; -- Begin function fft_rtc_back_len1782_factors_11_3_3_3_3_2_wgs_99_tpt_99_halfLds_sp_op_CI_CI_unitstride_sbrr_C2R_dirReg
	.globl	fft_rtc_back_len1782_factors_11_3_3_3_3_2_wgs_99_tpt_99_halfLds_sp_op_CI_CI_unitstride_sbrr_C2R_dirReg
	.p2align	8
	.type	fft_rtc_back_len1782_factors_11_3_3_3_3_2_wgs_99_tpt_99_halfLds_sp_op_CI_CI_unitstride_sbrr_C2R_dirReg,@function
fft_rtc_back_len1782_factors_11_3_3_3_3_2_wgs_99_tpt_99_halfLds_sp_op_CI_CI_unitstride_sbrr_C2R_dirReg: ; @fft_rtc_back_len1782_factors_11_3_3_3_3_2_wgs_99_tpt_99_halfLds_sp_op_CI_CI_unitstride_sbrr_C2R_dirReg
; %bb.0:
	s_load_dwordx4 s[4:7], s[0:1], 0x58
	s_load_dwordx4 s[8:11], s[0:1], 0x0
	;; [unrolled: 1-line block ×3, first 2 shown]
	v_mul_u32_u24_e32 v1, 0x296, v0
	v_add_u32_sdwa v6, s2, v1 dst_sel:DWORD dst_unused:UNUSED_PAD src0_sel:DWORD src1_sel:WORD_1
	v_mov_b32_e32 v4, 0
	s_waitcnt lgkmcnt(0)
	v_cmp_lt_u64_e64 s[2:3], s[10:11], 2
	v_mov_b32_e32 v7, v4
	s_and_b64 vcc, exec, s[2:3]
	v_mov_b64_e32 v[2:3], 0
	s_cbranch_vccnz .LBB0_8
; %bb.1:
	s_load_dwordx2 s[2:3], s[0:1], 0x10
	s_add_u32 s16, s14, 8
	s_addc_u32 s17, s15, 0
	s_add_u32 s18, s12, 8
	s_addc_u32 s19, s13, 0
	s_waitcnt lgkmcnt(0)
	s_add_u32 s20, s2, 8
	v_mov_b64_e32 v[2:3], 0
	s_addc_u32 s21, s3, 0
	s_mov_b64 s[22:23], 1
	v_mov_b64_e32 v[44:45], v[2:3]
.LBB0_2:                                ; =>This Inner Loop Header: Depth=1
	s_load_dwordx2 s[24:25], s[20:21], 0x0
                                        ; implicit-def: $vgpr48_vgpr49
	s_waitcnt lgkmcnt(0)
	v_or_b32_e32 v5, s25, v7
	v_cmp_ne_u64_e32 vcc, 0, v[4:5]
	s_and_saveexec_b64 s[2:3], vcc
	s_xor_b64 s[26:27], exec, s[2:3]
	s_cbranch_execz .LBB0_4
; %bb.3:                                ;   in Loop: Header=BB0_2 Depth=1
	v_cvt_f32_u32_e32 v1, s24
	v_cvt_f32_u32_e32 v5, s25
	s_sub_u32 s2, 0, s24
	s_subb_u32 s3, 0, s25
	v_fmac_f32_e32 v1, 0x4f800000, v5
	v_rcp_f32_e32 v1, v1
	s_nop 0
	v_mul_f32_e32 v1, 0x5f7ffffc, v1
	v_mul_f32_e32 v5, 0x2f800000, v1
	v_trunc_f32_e32 v5, v5
	v_fmac_f32_e32 v1, 0xcf800000, v5
	v_cvt_u32_f32_e32 v5, v5
	v_cvt_u32_f32_e32 v1, v1
	v_mul_lo_u32 v8, s2, v5
	v_mul_hi_u32 v10, s2, v1
	v_mul_lo_u32 v9, s3, v1
	v_add_u32_e32 v10, v10, v8
	v_mul_lo_u32 v12, s2, v1
	v_add_u32_e32 v13, v10, v9
	v_mul_hi_u32 v8, v1, v12
	v_mul_hi_u32 v11, v1, v13
	v_mul_lo_u32 v10, v1, v13
	v_mov_b32_e32 v9, v4
	v_lshl_add_u64 v[8:9], v[8:9], 0, v[10:11]
	v_mul_hi_u32 v11, v5, v12
	v_mul_lo_u32 v12, v5, v12
	v_add_co_u32_e32 v8, vcc, v8, v12
	v_mul_hi_u32 v10, v5, v13
	s_nop 0
	v_addc_co_u32_e32 v8, vcc, v9, v11, vcc
	v_mov_b32_e32 v9, v4
	s_nop 0
	v_addc_co_u32_e32 v11, vcc, 0, v10, vcc
	v_mul_lo_u32 v10, v5, v13
	v_lshl_add_u64 v[8:9], v[8:9], 0, v[10:11]
	v_add_co_u32_e32 v1, vcc, v1, v8
	v_mul_lo_u32 v10, s2, v1
	s_nop 0
	v_addc_co_u32_e32 v5, vcc, v5, v9, vcc
	v_mul_lo_u32 v8, s2, v5
	v_mul_hi_u32 v9, s2, v1
	v_add_u32_e32 v8, v9, v8
	v_mul_lo_u32 v9, s3, v1
	v_add_u32_e32 v12, v8, v9
	v_mul_hi_u32 v14, v5, v10
	v_mul_lo_u32 v15, v5, v10
	v_mul_hi_u32 v9, v1, v12
	v_mul_lo_u32 v8, v1, v12
	v_mul_hi_u32 v10, v1, v10
	v_mov_b32_e32 v11, v4
	v_lshl_add_u64 v[8:9], v[10:11], 0, v[8:9]
	v_add_co_u32_e32 v8, vcc, v8, v15
	v_mul_hi_u32 v13, v5, v12
	s_nop 0
	v_addc_co_u32_e32 v8, vcc, v9, v14, vcc
	v_mul_lo_u32 v10, v5, v12
	s_nop 0
	v_addc_co_u32_e32 v11, vcc, 0, v13, vcc
	v_mov_b32_e32 v9, v4
	v_lshl_add_u64 v[8:9], v[8:9], 0, v[10:11]
	v_add_co_u32_e32 v1, vcc, v1, v8
	v_mul_hi_u32 v10, v6, v1
	s_nop 0
	v_addc_co_u32_e32 v5, vcc, v5, v9, vcc
	v_mad_u64_u32 v[8:9], s[2:3], v6, v5, 0
	v_mov_b32_e32 v11, v4
	v_lshl_add_u64 v[8:9], v[10:11], 0, v[8:9]
	v_mad_u64_u32 v[12:13], s[2:3], v7, v1, 0
	v_add_co_u32_e32 v1, vcc, v8, v12
	v_mad_u64_u32 v[10:11], s[2:3], v7, v5, 0
	s_nop 0
	v_addc_co_u32_e32 v8, vcc, v9, v13, vcc
	v_mov_b32_e32 v9, v4
	s_nop 0
	v_addc_co_u32_e32 v11, vcc, 0, v11, vcc
	v_lshl_add_u64 v[8:9], v[8:9], 0, v[10:11]
	v_mul_lo_u32 v1, s25, v8
	v_mul_lo_u32 v5, s24, v9
	v_mad_u64_u32 v[10:11], s[2:3], s24, v8, 0
	v_add3_u32 v1, v11, v5, v1
	v_sub_u32_e32 v5, v7, v1
	v_mov_b32_e32 v11, s25
	v_sub_co_u32_e32 v14, vcc, v6, v10
	v_lshl_add_u64 v[12:13], v[8:9], 0, 1
	s_nop 0
	v_subb_co_u32_e64 v5, s[2:3], v5, v11, vcc
	v_subrev_co_u32_e64 v10, s[2:3], s24, v14
	v_subb_co_u32_e32 v1, vcc, v7, v1, vcc
	s_nop 0
	v_subbrev_co_u32_e64 v5, s[2:3], 0, v5, s[2:3]
	v_cmp_le_u32_e64 s[2:3], s25, v5
	v_cmp_le_u32_e32 vcc, s25, v1
	s_nop 0
	v_cndmask_b32_e64 v11, 0, -1, s[2:3]
	v_cmp_le_u32_e64 s[2:3], s24, v10
	s_nop 1
	v_cndmask_b32_e64 v10, 0, -1, s[2:3]
	v_cmp_eq_u32_e64 s[2:3], s25, v5
	s_nop 1
	v_cndmask_b32_e64 v5, v11, v10, s[2:3]
	v_lshl_add_u64 v[10:11], v[8:9], 0, 2
	v_cmp_ne_u32_e64 s[2:3], 0, v5
	s_nop 1
	v_cndmask_b32_e64 v5, v13, v11, s[2:3]
	v_cndmask_b32_e64 v11, 0, -1, vcc
	v_cmp_le_u32_e32 vcc, s24, v14
	s_nop 1
	v_cndmask_b32_e64 v13, 0, -1, vcc
	v_cmp_eq_u32_e32 vcc, s25, v1
	s_nop 1
	v_cndmask_b32_e32 v1, v11, v13, vcc
	v_cmp_ne_u32_e32 vcc, 0, v1
	v_cndmask_b32_e64 v1, v12, v10, s[2:3]
	s_nop 0
	v_cndmask_b32_e32 v49, v9, v5, vcc
	v_cndmask_b32_e32 v48, v8, v1, vcc
.LBB0_4:                                ;   in Loop: Header=BB0_2 Depth=1
	s_andn2_saveexec_b64 s[2:3], s[26:27]
	s_cbranch_execz .LBB0_6
; %bb.5:                                ;   in Loop: Header=BB0_2 Depth=1
	v_cvt_f32_u32_e32 v1, s24
	s_sub_i32 s26, 0, s24
	v_mov_b32_e32 v49, v4
	v_rcp_iflag_f32_e32 v1, v1
	s_nop 0
	v_mul_f32_e32 v1, 0x4f7ffffe, v1
	v_cvt_u32_f32_e32 v1, v1
	v_mul_lo_u32 v5, s26, v1
	v_mul_hi_u32 v5, v1, v5
	v_add_u32_e32 v1, v1, v5
	v_mul_hi_u32 v1, v6, v1
	v_mul_lo_u32 v5, v1, s24
	v_sub_u32_e32 v5, v6, v5
	v_add_u32_e32 v8, 1, v1
	v_subrev_u32_e32 v9, s24, v5
	v_cmp_le_u32_e32 vcc, s24, v5
	s_nop 1
	v_cndmask_b32_e32 v5, v5, v9, vcc
	v_cndmask_b32_e32 v1, v1, v8, vcc
	v_add_u32_e32 v8, 1, v1
	v_cmp_le_u32_e32 vcc, s24, v5
	s_nop 1
	v_cndmask_b32_e32 v48, v1, v8, vcc
.LBB0_6:                                ;   in Loop: Header=BB0_2 Depth=1
	s_or_b64 exec, exec, s[2:3]
	v_mad_u64_u32 v[8:9], s[2:3], v48, s24, 0
	s_load_dwordx2 s[2:3], s[18:19], 0x0
	v_mul_lo_u32 v1, v49, s24
	v_mul_lo_u32 v5, v48, s25
	s_load_dwordx2 s[24:25], s[16:17], 0x0
	s_add_u32 s22, s22, 1
	v_add3_u32 v1, v9, v5, v1
	v_sub_co_u32_e32 v5, vcc, v6, v8
	s_addc_u32 s23, s23, 0
	s_nop 0
	v_subb_co_u32_e32 v1, vcc, v7, v1, vcc
	s_add_u32 s16, s16, 8
	s_waitcnt lgkmcnt(0)
	v_mul_lo_u32 v6, s2, v1
	v_mul_lo_u32 v7, s3, v5
	v_mad_u64_u32 v[2:3], s[2:3], s2, v5, v[2:3]
	s_addc_u32 s17, s17, 0
	v_add3_u32 v3, v7, v3, v6
	v_mul_lo_u32 v1, s24, v1
	v_mul_lo_u32 v6, s25, v5
	v_mad_u64_u32 v[44:45], s[2:3], s24, v5, v[44:45]
	s_add_u32 s18, s18, 8
	v_add3_u32 v45, v6, v45, v1
	s_addc_u32 s19, s19, 0
	v_mov_b64_e32 v[6:7], s[10:11]
	s_add_u32 s20, s20, 8
	v_cmp_ge_u64_e32 vcc, s[22:23], v[6:7]
	s_addc_u32 s21, s21, 0
	s_cbranch_vccnz .LBB0_9
; %bb.7:                                ;   in Loop: Header=BB0_2 Depth=1
	v_mov_b64_e32 v[6:7], v[48:49]
	s_branch .LBB0_2
.LBB0_8:
	v_mov_b64_e32 v[44:45], v[2:3]
	v_mov_b64_e32 v[48:49], v[6:7]
.LBB0_9:
	s_load_dwordx2 s[18:19], s[0:1], 0x28
	s_lshl_b64 s[16:17], s[10:11], 3
	s_add_u32 s2, s14, s16
	s_addc_u32 s3, s15, s17
                                        ; implicit-def: $vgpr46
                                        ; implicit-def: $vgpr50_vgpr51
	s_waitcnt lgkmcnt(0)
	v_cmp_gt_u64_e64 s[0:1], s[18:19], v[48:49]
	v_cmp_le_u64_e32 vcc, s[18:19], v[48:49]
	s_and_saveexec_b64 s[10:11], vcc
	s_xor_b64 s[10:11], exec, s[10:11]
; %bb.10:
	s_mov_b32 s14, 0x295fad5
	v_mul_hi_u32 v1, v0, s14
	v_mul_u32_u24_e32 v1, 0x63, v1
	v_sub_u32_e32 v46, v0, v1
	v_mov_b32_e32 v47, 0
	v_mov_b64_e32 v[50:51], v[46:47]
                                        ; implicit-def: $vgpr0
                                        ; implicit-def: $vgpr2_vgpr3
; %bb.11:
	s_or_saveexec_b64 s[10:11], s[10:11]
	s_load_dwordx2 s[2:3], s[2:3], 0x0
	s_xor_b64 exec, exec, s[10:11]
	s_cbranch_execz .LBB0_15
; %bb.12:
	s_add_u32 s12, s12, s16
	s_addc_u32 s13, s13, s17
	s_load_dwordx2 s[12:13], s[12:13], 0x0
	s_mov_b32 s14, 0x295fad5
	v_mov_b32_e32 v47, 0
	s_waitcnt lgkmcnt(0)
	v_mul_lo_u32 v1, s13, v48
	v_mul_lo_u32 v6, s12, v49
	v_mad_u64_u32 v[4:5], s[12:13], s12, v48, 0
	v_add3_u32 v5, v5, v6, v1
	v_mul_hi_u32 v1, v0, s14
	v_mul_u32_u24_e32 v1, 0x63, v1
	v_sub_u32_e32 v46, v0, v1
	v_lshl_add_u64 v[0:1], v[4:5], 3, s[4:5]
	v_lshl_add_u64 v[0:1], v[2:3], 3, v[0:1]
	v_lshlrev_b32_e32 v2, 3, v46
	v_mov_b32_e32 v3, v47
	v_lshl_add_u64 v[4:5], v[0:1], 0, v[2:3]
	s_movk_i32 s4, 0x1000
	v_add_co_u32_e32 v14, vcc, s4, v4
	s_movk_i32 s4, 0x2000
	s_nop 0
	v_addc_co_u32_e32 v15, vcc, 0, v5, vcc
	v_add_co_u32_e32 v24, vcc, s4, v4
	global_load_dwordx2 v[6:7], v[4:5], off
	global_load_dwordx2 v[8:9], v[4:5], off offset:792
	global_load_dwordx2 v[10:11], v[4:5], off offset:1584
	;; [unrolled: 1-line block ×3, first 2 shown]
	v_addc_co_u32_e32 v25, vcc, 0, v5, vcc
	global_load_dwordx2 v[16:17], v[4:5], off offset:3168
	global_load_dwordx2 v[18:19], v[4:5], off offset:3960
	;; [unrolled: 1-line block ×4, first 2 shown]
	v_add_co_u32_e32 v4, vcc, 0x3000, v4
	global_load_dwordx2 v[26:27], v[14:15], off offset:2240
	global_load_dwordx2 v[28:29], v[14:15], off offset:3032
	;; [unrolled: 1-line block ×8, first 2 shown]
	v_addc_co_u32_e32 v5, vcc, 0, v5, vcc
	global_load_dwordx2 v[14:15], v[4:5], off offset:384
	global_load_dwordx2 v[24:25], v[4:5], off offset:1176
	v_add_u32_e32 v2, 0, v2
	s_movk_i32 s4, 0x62
	v_add_u32_e32 v50, 0x2400, v2
	v_add_u32_e32 v51, 0x2800, v2
	v_cmp_eq_u32_e32 vcc, s4, v46
	v_add_u32_e32 v3, 0x400, v2
	v_add_u32_e32 v4, 0x800, v2
	;; [unrolled: 1-line block ×6, first 2 shown]
	s_waitcnt vmcnt(16)
	ds_write2_b64 v2, v[6:7], v[8:9] offset1:99
	s_waitcnt vmcnt(14)
	ds_write2_b64 v3, v[10:11], v[12:13] offset0:70 offset1:169
	s_waitcnt vmcnt(12)
	ds_write2_b64 v4, v[16:17], v[18:19] offset0:140 offset1:239
	;; [unrolled: 2-line block ×8, first 2 shown]
	v_mov_b64_e32 v[50:51], v[46:47]
	s_and_saveexec_b64 s[4:5], vcc
	s_cbranch_execz .LBB0_14
; %bb.13:
	v_add_co_u32_e32 v0, vcc, 0x3000, v0
	v_mov_b32_e32 v46, 0x62
	s_nop 0
	v_addc_co_u32_e32 v1, vcc, 0, v1, vcc
	global_load_dwordx2 v[0:1], v[0:1], off offset:1968
	v_mov_b64_e32 v[50:51], 0x62
	s_waitcnt vmcnt(0)
	ds_write_b64 v47, v[0:1] offset:14256
.LBB0_14:
	s_or_b64 exec, exec, s[4:5]
.LBB0_15:
	s_or_b64 exec, exec, s[10:11]
	v_lshlrev_b32_e32 v0, 3, v46
	v_add_u32_e32 v80, 0, v0
	s_waitcnt lgkmcnt(0)
	s_barrier
	v_sub_u32_e32 v2, 0, v0
	ds_read_b32 v1, v80
	ds_read_b32 v3, v2 offset:14256
	s_add_u32 s4, s8, 0x3758
	s_addc_u32 s5, s9, 0
	v_cmp_ne_u32_e32 vcc, 0, v46
	s_waitcnt lgkmcnt(0)
	v_add_f32_e32 v0, v3, v1
	v_sub_f32_e32 v1, v1, v3
	s_and_saveexec_b64 s[10:11], vcc
	s_xor_b64 s[10:11], exec, s[10:11]
	s_cbranch_execz .LBB0_17
; %bb.16:
	v_lshl_add_u64 v[4:5], v[50:51], 3, s[4:5]
	global_load_dwordx2 v[4:5], v[4:5], off
	ds_read_b32 v3, v2 offset:14260
	ds_read_b32 v9, v80 offset:4
	v_mov_b32_e32 v6, v1
	v_mov_b32_e32 v8, v0
	;; [unrolled: 1-line block ×3, first 2 shown]
	s_waitcnt lgkmcnt(0)
	v_add_f32_e32 v7, v3, v9
	v_sub_f32_e32 v9, v9, v3
	v_mov_b32_e32 v10, v7
	s_waitcnt vmcnt(0)
	v_pk_mul_f32 v[12:13], v[6:7], v[4:5] op_sel:[0,1]
	v_pk_fma_f32 v[6:7], v[6:7], v[4:5], v[8:9] op_sel:[0,1,0]
	v_mov_b32_e32 v1, v13
	v_mov_b32_e32 v13, v9
	v_pk_fma_f32 v[14:15], v[4:5], v[10:11], v[6:7] neg_lo:[1,0,0] neg_hi:[1,0,0]
	v_pk_fma_f32 v[6:7], v[4:5], v[10:11], v[6:7] op_sel_hi:[0,1,1]
	v_pk_add_f32 v[0:1], v[0:1], v[12:13] neg_lo:[0,1] neg_hi:[0,1]
	v_mov_b32_e32 v15, v7
	v_pk_fma_f32 v[0:1], v[4:5], v[10:11], v[0:1] op_sel_hi:[0,1,1]
	ds_write_b64 v2, v[0:1] offset:14256
	v_mov_b64_e32 v[0:1], v[14:15]
.LBB0_17:
	s_andn2_saveexec_b64 s[10:11], s[10:11]
	s_cbranch_execz .LBB0_19
; %bb.18:
	v_mov_b32_e32 v3, 0
	ds_read_b64 v[4:5], v3 offset:7128
	s_mov_b32 s12, 2.0
	s_mov_b32 s13, -2.0
	s_waitcnt lgkmcnt(0)
	v_pk_mul_f32 v[4:5], v[4:5], s[12:13]
	ds_write_b64 v3, v[4:5] offset:7128
.LBB0_19:
	s_or_b64 exec, exec, s[10:11]
	v_mov_b32_e32 v47, 0
	v_lshl_add_u64 v[4:5], v[46:47], 3, s[4:5]
	global_load_dwordx2 v[6:7], v[4:5], off offset:792
	v_add_u32_e32 v54, 0xc6, v46
	v_mov_b32_e32 v55, v47
	v_lshl_add_u64 v[8:9], v[54:55], 3, s[4:5]
	global_load_dwordx2 v[8:9], v[8:9], off
	v_add_u32_e32 v52, 0x129, v46
	v_mov_b32_e32 v53, v47
	v_lshl_add_u64 v[10:11], v[52:53], 3, s[4:5]
	global_load_dwordx2 v[10:11], v[10:11], off
	v_add_u32_e32 v58, 0x18c, v46
	v_mov_b32_e32 v59, v47
	ds_write_b64 v80, v[0:1]
	v_lshl_add_u64 v[0:1], v[58:59], 3, s[4:5]
	global_load_dwordx2 v[0:1], v[0:1], off
	v_add_u32_e32 v56, 0x1ef, v46
	v_mov_b32_e32 v57, v47
	v_lshl_add_u64 v[16:17], v[56:57], 3, s[4:5]
	ds_read_b64 v[12:13], v80 offset:792
	ds_read_b64 v[14:15], v2 offset:13464
	global_load_dwordx2 v[16:17], v[16:17], off
	s_movk_i32 s11, 0x1000
	v_add_co_u32_e32 v4, vcc, s11, v4
	s_waitcnt lgkmcnt(0)
	v_pk_add_f32 v[18:19], v[12:13], v[14:15]
	v_pk_add_f32 v[12:13], v[12:13], v[14:15] neg_lo:[0,1] neg_hi:[0,1]
	v_mov_b32_e32 v14, v19
	v_mov_b32_e32 v15, v12
	;; [unrolled: 1-line block ×3, first 2 shown]
	v_addc_co_u32_e32 v5, vcc, 0, v5, vcc
	v_lshl_add_u32 v82, v54, 3, 0
	v_lshl_add_u32 v81, v52, 3, 0
	;; [unrolled: 1-line block ×4, first 2 shown]
	v_add_u32_e32 v88, 0x400, v80
	v_add_u32_e32 v86, 0x3000, v80
	;; [unrolled: 1-line block ×4, first 2 shown]
	s_mov_b32 s16, 0xbf0a6770
	s_mov_b32 s4, 0x3f575c64
	;; [unrolled: 1-line block ×14, first 2 shown]
	v_cmp_gt_u32_e32 vcc, 63, v46
	s_waitcnt vmcnt(4)
	v_pk_mul_f32 v[20:21], v[14:15], v[6:7] op_sel:[0,1]
	s_nop 0
	v_pk_add_f32 v[22:23], v[18:19], v[20:21] op_sel:[0,1] op_sel_hi:[1,0]
	v_mov_b32_e32 v19, v20
	v_mov_b32_e32 v12, v21
	v_pk_fma_f32 v[20:21], v[6:7], v[14:15], v[22:23] neg_lo:[1,0,0] neg_hi:[1,0,0]
	v_pk_fma_f32 v[22:23], v[6:7], v[14:15], v[22:23] op_sel_hi:[0,1,1]
	v_pk_add_f32 v[12:13], v[18:19], v[12:13] neg_lo:[0,1] neg_hi:[0,1]
	v_mov_b32_e32 v21, v23
	v_pk_fma_f32 v[6:7], v[6:7], v[14:15], v[12:13] op_sel_hi:[0,1,1]
	ds_write_b64 v80, v[20:21] offset:792
	ds_write_b64 v2, v[6:7] offset:13464
	ds_read_b64 v[6:7], v2 offset:12672
	ds_read_b64 v[12:13], v82
	global_load_dwordx2 v[14:15], v[4:5], off offset:656
	s_waitcnt lgkmcnt(0)
	v_pk_add_f32 v[18:19], v[12:13], v[6:7]
	v_pk_add_f32 v[6:7], v[12:13], v[6:7] neg_lo:[0,1] neg_hi:[0,1]
	v_mov_b32_e32 v12, v19
	v_mov_b32_e32 v13, v6
	;; [unrolled: 1-line block ×3, first 2 shown]
	s_waitcnt vmcnt(4)
	v_pk_mul_f32 v[20:21], v[12:13], v[8:9] op_sel:[0,1]
	s_nop 0
	v_pk_add_f32 v[22:23], v[18:19], v[20:21] op_sel:[0,1] op_sel_hi:[1,0]
	v_mov_b32_e32 v19, v20
	v_mov_b32_e32 v6, v21
	v_pk_fma_f32 v[20:21], v[8:9], v[12:13], v[22:23] neg_lo:[1,0,0] neg_hi:[1,0,0]
	v_pk_fma_f32 v[22:23], v[8:9], v[12:13], v[22:23] op_sel_hi:[0,1,1]
	v_pk_add_f32 v[6:7], v[18:19], v[6:7] neg_lo:[0,1] neg_hi:[0,1]
	v_mov_b32_e32 v21, v23
	v_pk_fma_f32 v[6:7], v[8:9], v[12:13], v[6:7] op_sel_hi:[0,1,1]
	ds_write_b64 v82, v[20:21]
	ds_write_b64 v2, v[6:7] offset:12672
	ds_read_b64 v[6:7], v2 offset:11880
	ds_read_b64 v[8:9], v81
	global_load_dwordx2 v[12:13], v[4:5], off offset:1448
	s_waitcnt lgkmcnt(0)
	v_pk_add_f32 v[18:19], v[8:9], v[6:7]
	v_pk_add_f32 v[6:7], v[8:9], v[6:7] neg_lo:[0,1] neg_hi:[0,1]
	v_mov_b32_e32 v8, v19
	v_mov_b32_e32 v9, v6
	;; [unrolled: 1-line block ×3, first 2 shown]
	s_waitcnt vmcnt(4)
	v_pk_mul_f32 v[20:21], v[8:9], v[10:11] op_sel:[0,1]
	s_nop 0
	v_pk_add_f32 v[22:23], v[18:19], v[20:21] op_sel:[0,1] op_sel_hi:[1,0]
	v_mov_b32_e32 v19, v20
	v_mov_b32_e32 v6, v21
	v_pk_fma_f32 v[20:21], v[10:11], v[8:9], v[22:23] neg_lo:[1,0,0] neg_hi:[1,0,0]
	v_pk_fma_f32 v[22:23], v[10:11], v[8:9], v[22:23] op_sel_hi:[0,1,1]
	v_pk_add_f32 v[6:7], v[18:19], v[6:7] neg_lo:[0,1] neg_hi:[0,1]
	v_mov_b32_e32 v21, v23
	v_pk_fma_f32 v[6:7], v[10:11], v[8:9], v[6:7] op_sel_hi:[0,1,1]
	ds_write_b64 v81, v[20:21]
	ds_write_b64 v2, v[6:7] offset:11880
	ds_read_b64 v[6:7], v2 offset:11088
	ds_read_b64 v[8:9], v83
	global_load_dwordx2 v[4:5], v[4:5], off offset:2240
	v_add_u32_e32 v22, 0xc00, v80
	s_waitcnt lgkmcnt(0)
	v_pk_add_f32 v[10:11], v[8:9], v[6:7]
	v_pk_add_f32 v[6:7], v[8:9], v[6:7] neg_lo:[0,1] neg_hi:[0,1]
	v_mov_b32_e32 v8, v11
	v_mov_b32_e32 v9, v6
	;; [unrolled: 1-line block ×3, first 2 shown]
	s_waitcnt vmcnt(4)
	v_pk_mul_f32 v[18:19], v[8:9], v[0:1] op_sel:[0,1]
	s_nop 0
	v_pk_add_f32 v[20:21], v[10:11], v[18:19] op_sel:[0,1] op_sel_hi:[1,0]
	v_mov_b32_e32 v11, v18
	v_mov_b32_e32 v6, v19
	v_pk_fma_f32 v[18:19], v[0:1], v[8:9], v[20:21] neg_lo:[1,0,0] neg_hi:[1,0,0]
	v_pk_fma_f32 v[20:21], v[0:1], v[8:9], v[20:21] op_sel_hi:[0,1,1]
	v_pk_add_f32 v[6:7], v[10:11], v[6:7] neg_lo:[0,1] neg_hi:[0,1]
	v_mov_b32_e32 v19, v21
	v_pk_fma_f32 v[0:1], v[0:1], v[8:9], v[6:7] op_sel_hi:[0,1,1]
	ds_write_b64 v83, v[18:19]
	ds_write_b64 v2, v[0:1] offset:11088
	ds_read_b64 v[0:1], v2 offset:10296
	ds_read_b64 v[6:7], v84
	s_waitcnt lgkmcnt(0)
	v_pk_add_f32 v[8:9], v[6:7], v[0:1]
	v_pk_add_f32 v[0:1], v[6:7], v[0:1] neg_lo:[0,1] neg_hi:[0,1]
	v_mov_b32_e32 v6, v9
	v_mov_b32_e32 v7, v0
	;; [unrolled: 1-line block ×3, first 2 shown]
	s_waitcnt vmcnt(3)
	v_pk_mul_f32 v[10:11], v[6:7], v[16:17] op_sel:[0,1]
	s_nop 0
	v_pk_add_f32 v[18:19], v[8:9], v[10:11] op_sel:[0,1] op_sel_hi:[1,0]
	v_mov_b32_e32 v9, v10
	v_mov_b32_e32 v0, v11
	v_pk_fma_f32 v[10:11], v[16:17], v[6:7], v[18:19] neg_lo:[1,0,0] neg_hi:[1,0,0]
	v_pk_fma_f32 v[18:19], v[16:17], v[6:7], v[18:19] op_sel_hi:[0,1,1]
	v_pk_add_f32 v[0:1], v[8:9], v[0:1] neg_lo:[0,1] neg_hi:[0,1]
	v_mov_b32_e32 v11, v19
	v_pk_fma_f32 v[0:1], v[16:17], v[6:7], v[0:1] op_sel_hi:[0,1,1]
	ds_write_b64 v84, v[10:11]
	ds_write_b64 v2, v[0:1] offset:10296
	ds_read_b64 v[0:1], v2 offset:9504
	ds_read_b64 v[6:7], v80 offset:4752
	s_waitcnt lgkmcnt(0)
	v_pk_add_f32 v[8:9], v[6:7], v[0:1]
	v_pk_add_f32 v[0:1], v[6:7], v[0:1] neg_lo:[0,1] neg_hi:[0,1]
	v_mov_b32_e32 v6, v9
	v_mov_b32_e32 v7, v0
	v_mov_b32_e32 v9, v1
	s_waitcnt vmcnt(2)
	v_pk_mul_f32 v[10:11], v[6:7], v[14:15] op_sel:[0,1]
	s_nop 0
	v_pk_add_f32 v[16:17], v[8:9], v[10:11] op_sel:[0,1] op_sel_hi:[1,0]
	v_mov_b32_e32 v9, v10
	v_mov_b32_e32 v0, v11
	v_pk_fma_f32 v[10:11], v[14:15], v[6:7], v[16:17] neg_lo:[1,0,0] neg_hi:[1,0,0]
	v_pk_fma_f32 v[16:17], v[14:15], v[6:7], v[16:17] op_sel_hi:[0,1,1]
	v_pk_add_f32 v[0:1], v[8:9], v[0:1] neg_lo:[0,1] neg_hi:[0,1]
	v_mov_b32_e32 v11, v17
	v_pk_fma_f32 v[0:1], v[14:15], v[6:7], v[0:1] op_sel_hi:[0,1,1]
	ds_write_b64 v80, v[10:11] offset:4752
	ds_write_b64 v2, v[0:1] offset:9504
	ds_read_b64 v[0:1], v2 offset:8712
	ds_read_b64 v[6:7], v80 offset:5544
	s_waitcnt lgkmcnt(0)
	v_pk_add_f32 v[8:9], v[6:7], v[0:1]
	v_pk_add_f32 v[0:1], v[6:7], v[0:1] neg_lo:[0,1] neg_hi:[0,1]
	v_mov_b32_e32 v6, v9
	v_mov_b32_e32 v7, v0
	v_mov_b32_e32 v9, v1
	s_waitcnt vmcnt(1)
	v_pk_mul_f32 v[10:11], v[6:7], v[12:13] op_sel:[0,1]
	s_nop 0
	v_pk_add_f32 v[14:15], v[8:9], v[10:11] op_sel:[0,1] op_sel_hi:[1,0]
	v_mov_b32_e32 v9, v10
	v_mov_b32_e32 v0, v11
	v_pk_fma_f32 v[10:11], v[12:13], v[6:7], v[14:15] neg_lo:[1,0,0] neg_hi:[1,0,0]
	v_pk_fma_f32 v[14:15], v[12:13], v[6:7], v[14:15] op_sel_hi:[0,1,1]
	v_pk_add_f32 v[0:1], v[8:9], v[0:1] neg_lo:[0,1] neg_hi:[0,1]
	v_mov_b32_e32 v11, v15
	v_pk_fma_f32 v[0:1], v[12:13], v[6:7], v[0:1] op_sel_hi:[0,1,1]
	ds_write_b64 v80, v[10:11] offset:5544
	;; [unrolled: 21-line block ×3, first 2 shown]
	ds_write_b64 v2, v[0:1] offset:7920
	s_waitcnt lgkmcnt(0)
	s_barrier
	s_barrier
	ds_read2_b64 v[4:7], v88 offset0:34 offset1:133
	ds_read2_b64 v[0:3], v80 offset1:99
	ds_read2_b64 v[12:15], v86 offset0:84 offset1:183
	ds_read2_b64 v[8:11], v87 offset0:68 offset1:167
	;; [unrolled: 1-line block ×3, first 2 shown]
	s_waitcnt lgkmcnt(2)
	v_pk_add_f32 v[92:93], v[4:5], v[12:13] neg_lo:[0,1] neg_hi:[0,1]
	v_pk_add_f32 v[90:91], v[12:13], v[4:5]
	v_pk_mul_f32 v[20:21], v[92:93], s[16:17] op_sel_hi:[1,0]
	s_waitcnt lgkmcnt(0)
	v_pk_add_f32 v[96:97], v[8:9], v[16:17] neg_lo:[0,1] neg_hi:[0,1]
	v_pk_fma_f32 v[62:63], v[90:91], s[4:5], v[20:21] op_sel:[0,0,1] op_sel_hi:[1,0,0]
	v_pk_fma_f32 v[60:61], v[90:91], s[4:5], v[20:21] op_sel:[0,0,1] op_sel_hi:[1,0,0] neg_lo:[0,0,1] neg_hi:[0,0,1]
	v_mov_b32_e32 v20, v62
	v_mov_b32_e32 v21, v61
	v_pk_add_f32 v[28:29], v[0:1], v[20:21]
	v_pk_add_f32 v[94:95], v[16:17], v[8:9]
	v_pk_mul_f32 v[20:21], v[96:97], s[26:27] op_sel_hi:[1,0]
	v_add_u32_e32 v62, 0x1000, v80
	v_pk_fma_f32 v[66:67], v[94:95], s[10:11], v[20:21] op_sel:[0,0,1] op_sel_hi:[1,0,0]
	v_pk_fma_f32 v[64:65], v[94:95], s[10:11], v[20:21] op_sel:[0,0,1] op_sel_hi:[1,0,0] neg_lo:[0,0,1] neg_hi:[0,0,1]
	v_mov_b32_e32 v30, v66
	v_add_u32_e32 v66, 0x2800, v80
	ds_read2_b64 v[20:23], v22 offset0:102 offset1:201
	ds_read2_b64 v[24:27], v66 offset0:16 offset1:115
	v_mov_b32_e32 v31, v65
	v_pk_add_f32 v[36:37], v[30:31], v[28:29]
	v_pk_add_f32 v[4:5], v[0:1], v[4:5]
	s_movk_i32 s5, 0x50
	s_waitcnt lgkmcnt(0)
	v_pk_add_f32 v[100:101], v[20:21], v[24:25] neg_lo:[0,1] neg_hi:[0,1]
	v_pk_add_f32 v[98:99], v[24:25], v[20:21]
	v_pk_mul_f32 v[28:29], v[100:101], s[14:15] op_sel_hi:[1,0]
	v_pk_add_f32 v[4:5], v[4:5], v[8:9]
	v_pk_fma_f32 v[68:69], v[98:99], s[12:13], v[28:29] op_sel:[0,0,1] op_sel_hi:[1,0,0]
	v_pk_fma_f32 v[70:71], v[98:99], s[12:13], v[28:29] op_sel:[0,0,1] op_sel_hi:[1,0,0] neg_lo:[0,0,1] neg_hi:[0,0,1]
	v_add_u32_e32 v28, 0x2000, v80
	ds_read2_b64 v[28:31], v28 offset0:110 offset1:209
	ds_read2_b64 v[32:35], v62 offset0:136 offset1:235
	v_mov_b32_e32 v38, v68
	v_mov_b32_e32 v39, v71
	v_pk_add_f32 v[76:77], v[38:39], v[36:37]
	v_add_u32_e32 v68, 0x1800, v80
	s_waitcnt lgkmcnt(0)
	v_pk_add_f32 v[104:105], v[32:33], v[28:29] neg_lo:[0,1] neg_hi:[0,1]
	v_pk_add_f32 v[102:103], v[28:29], v[32:33]
	v_pk_mul_f32 v[36:37], v[104:105], s[20:21] op_sel_hi:[1,0]
	v_pk_add_f32 v[4:5], v[4:5], v[20:21]
	v_pk_fma_f32 v[72:73], v[102:103], s[18:19], v[36:37] op_sel:[0,0,1] op_sel_hi:[1,0,0]
	v_pk_fma_f32 v[74:75], v[102:103], s[18:19], v[36:37] op_sel:[0,0,1] op_sel_hi:[1,0,0] neg_lo:[0,0,1] neg_hi:[0,0,1]
	v_mov_b32_e32 v78, v72
	v_add_u32_e32 v72, 0x1c00, v80
	ds_read2_b64 v[36:39], v68 offset0:42 offset1:141
	ds_read2_b64 v[40:43], v72 offset0:76 offset1:175
	v_pk_add_f32 v[4:5], v[4:5], v[32:33]
	v_mov_b32_e32 v79, v75
	v_pk_add_f32 v[106:107], v[78:79], v[76:77]
	s_waitcnt lgkmcnt(1)
	v_pk_add_f32 v[4:5], v[4:5], v[36:37]
	s_waitcnt lgkmcnt(0)
	v_pk_add_f32 v[110:111], v[36:37], v[40:41] neg_lo:[0,1] neg_hi:[0,1]
	v_pk_add_f32 v[4:5], v[4:5], v[40:41]
	v_pk_add_f32 v[108:109], v[40:41], v[36:37]
	v_pk_mul_f32 v[78:79], v[110:111], s[24:25] op_sel_hi:[1,0]
	v_pk_add_f32 v[4:5], v[4:5], v[28:29]
	v_pk_fma_f32 v[76:77], v[108:109], s[22:23], v[78:79] op_sel:[0,0,1] op_sel_hi:[1,0,0]
	v_pk_fma_f32 v[78:79], v[108:109], s[22:23], v[78:79] op_sel:[0,0,1] op_sel_hi:[1,0,0] neg_lo:[0,0,1] neg_hi:[0,0,1]
	v_pk_add_f32 v[4:5], v[4:5], v[24:25]
	v_mov_b32_e32 v112, v76
	v_mov_b32_e32 v113, v79
	v_pk_add_f32 v[4:5], v[4:5], v[16:17]
	v_pk_add_f32 v[106:107], v[112:113], v[106:107]
	v_pk_add_f32 v[4:5], v[4:5], v[12:13]
	v_mad_u32_u24 v76, v46, s5, v80
	s_barrier
	ds_write2_b64 v76, v[4:5], v[106:107] offset1:1
	v_pk_mul_f32 v[4:5], v[92:93], s[26:27] op_sel_hi:[1,0]
	v_pk_mul_f32 v[16:17], v[96:97], s[20:21] op_sel_hi:[1,0]
	v_pk_fma_f32 v[8:9], v[90:91], s[10:11], v[4:5] op_sel:[0,0,1] op_sel_hi:[1,0,0]
	v_pk_fma_f32 v[4:5], v[90:91], s[10:11], v[4:5] op_sel:[0,0,1] op_sel_hi:[1,0,0] neg_lo:[0,0,1] neg_hi:[0,0,1]
	v_mov_b32_e32 v12, v8
	v_mov_b32_e32 v13, v5
	v_pk_fma_f32 v[20:21], v[94:95], s[18:19], v[16:17] op_sel:[0,0,1] op_sel_hi:[1,0,0]
	v_pk_fma_f32 v[16:17], v[94:95], s[18:19], v[16:17] op_sel:[0,0,1] op_sel_hi:[1,0,0] neg_lo:[0,0,1] neg_hi:[0,0,1]
	v_pk_add_f32 v[12:13], v[0:1], v[12:13]
	v_mov_b32_e32 v24, v20
	v_mov_b32_e32 v25, v17
	v_pk_add_f32 v[12:13], v[24:25], v[12:13]
	v_pk_mul_f32 v[24:25], v[100:101], s[36:37] op_sel_hi:[1,0]
	v_pk_mul_f32 v[118:119], v[96:97], s[36:37] op_sel_hi:[1,0]
	v_pk_fma_f32 v[28:29], v[98:99], s[22:23], v[24:25] op_sel:[0,0,1] op_sel_hi:[1,0,0]
	v_pk_fma_f32 v[24:25], v[98:99], s[22:23], v[24:25] op_sel:[0,0,1] op_sel_hi:[1,0,0] neg_lo:[0,0,1] neg_hi:[0,0,1]
	v_mov_b32_e32 v32, v28
	v_mov_b32_e32 v33, v25
	v_pk_add_f32 v[12:13], v[32:33], v[12:13]
	v_pk_mul_f32 v[32:33], v[104:105], s[34:35] op_sel_hi:[1,0]
	v_pk_fma_f32 v[120:121], v[94:95], s[22:23], v[118:119] op_sel:[0,0,1] op_sel_hi:[1,0,0]
	v_pk_fma_f32 v[36:37], v[102:103], s[12:13], v[32:33] op_sel:[0,0,1] op_sel_hi:[1,0,0]
	v_pk_fma_f32 v[32:33], v[102:103], s[12:13], v[32:33] op_sel:[0,0,1] op_sel_hi:[1,0,0] neg_lo:[0,0,1] neg_hi:[0,0,1]
	v_mov_b32_e32 v40, v36
	v_mov_b32_e32 v41, v33
	v_pk_add_f32 v[12:13], v[40:41], v[12:13]
	v_pk_mul_f32 v[40:41], v[110:111], s[28:29] op_sel_hi:[1,0]
	v_pk_fma_f32 v[118:119], v[94:95], s[22:23], v[118:119] op_sel:[0,0,1] op_sel_hi:[1,0,0] neg_lo:[0,0,1] neg_hi:[0,0,1]
	v_pk_fma_f32 v[106:107], v[108:109], s[4:5], v[40:41] op_sel:[0,0,1] op_sel_hi:[1,0,0]
	v_pk_fma_f32 v[40:41], v[108:109], s[4:5], v[40:41] op_sel:[0,0,1] op_sel_hi:[1,0,0] neg_lo:[0,0,1] neg_hi:[0,0,1]
	v_mov_b32_e32 v112, v106
	v_mov_b32_e32 v113, v41
	v_pk_add_f32 v[12:13], v[112:113], v[12:13]
	v_pk_mul_f32 v[112:113], v[92:93], s[14:15] op_sel_hi:[1,0]
	v_mov_b32_e32 v122, v120
	v_pk_fma_f32 v[114:115], v[90:91], s[12:13], v[112:113] op_sel:[0,0,1] op_sel_hi:[1,0,0]
	v_pk_fma_f32 v[112:113], v[90:91], s[12:13], v[112:113] op_sel:[0,0,1] op_sel_hi:[1,0,0] neg_lo:[0,0,1] neg_hi:[0,0,1]
	v_mov_b32_e32 v116, v114
	v_mov_b32_e32 v117, v113
	v_pk_add_f32 v[116:117], v[0:1], v[116:117]
	v_mov_b32_e32 v123, v119
	v_pk_add_f32 v[116:117], v[122:123], v[116:117]
	v_pk_mul_f32 v[122:123], v[100:101], s[30:31] op_sel_hi:[1,0]
	v_pk_mul_f32 v[136:137], v[96:97], s[34:35] op_sel_hi:[1,0]
	v_pk_fma_f32 v[124:125], v[98:99], s[10:11], v[122:123] op_sel:[0,0,1] op_sel_hi:[1,0,0]
	v_pk_fma_f32 v[122:123], v[98:99], s[10:11], v[122:123] op_sel:[0,0,1] op_sel_hi:[1,0,0] neg_lo:[0,0,1] neg_hi:[0,0,1]
	v_mov_b32_e32 v126, v124
	v_mov_b32_e32 v127, v123
	v_pk_add_f32 v[116:117], v[126:127], v[116:117]
	v_pk_mul_f32 v[126:127], v[104:105], s[16:17] op_sel_hi:[1,0]
	v_pk_fma_f32 v[138:139], v[94:95], s[12:13], v[136:137] op_sel:[0,0,1] op_sel_hi:[1,0,0]
	v_pk_fma_f32 v[128:129], v[102:103], s[4:5], v[126:127] op_sel:[0,0,1] op_sel_hi:[1,0,0]
	v_pk_fma_f32 v[126:127], v[102:103], s[4:5], v[126:127] op_sel:[0,0,1] op_sel_hi:[1,0,0] neg_lo:[0,0,1] neg_hi:[0,0,1]
	v_mov_b32_e32 v130, v128
	v_mov_b32_e32 v131, v127
	v_pk_add_f32 v[116:117], v[130:131], v[116:117]
	v_pk_mul_f32 v[130:131], v[110:111], s[20:21] op_sel_hi:[1,0]
	v_pk_fma_f32 v[136:137], v[94:95], s[12:13], v[136:137] op_sel:[0,0,1] op_sel_hi:[1,0,0] neg_lo:[0,0,1] neg_hi:[0,0,1]
	v_pk_fma_f32 v[132:133], v[108:109], s[18:19], v[130:131] op_sel:[0,0,1] op_sel_hi:[1,0,0]
	v_pk_fma_f32 v[130:131], v[108:109], s[18:19], v[130:131] op_sel:[0,0,1] op_sel_hi:[1,0,0] neg_lo:[0,0,1] neg_hi:[0,0,1]
	v_mov_b32_e32 v134, v132
	v_mov_b32_e32 v135, v131
	v_pk_add_f32 v[116:117], v[134:135], v[116:117]
	ds_write2_b64 v76, v[12:13], v[116:117] offset0:2 offset1:3
	v_pk_mul_f32 v[12:13], v[92:93], s[20:21] op_sel_hi:[1,0]
	v_mov_b32_e32 v140, v138
	v_pk_fma_f32 v[116:117], v[90:91], s[18:19], v[12:13] op_sel:[0,0,1] op_sel_hi:[1,0,0]
	v_pk_fma_f32 v[12:13], v[90:91], s[18:19], v[12:13] op_sel:[0,0,1] op_sel_hi:[1,0,0] neg_lo:[0,0,1] neg_hi:[0,0,1]
	v_mov_b32_e32 v134, v116
	v_mov_b32_e32 v135, v13
	v_pk_add_f32 v[134:135], v[0:1], v[134:135]
	v_mov_b32_e32 v141, v137
	v_pk_add_f32 v[134:135], v[140:141], v[134:135]
	v_pk_mul_f32 v[140:141], v[100:101], s[16:17] op_sel_hi:[1,0]
	v_pk_mul_f32 v[92:93], v[92:93], s[24:25] op_sel_hi:[1,0]
	v_pk_fma_f32 v[142:143], v[98:99], s[4:5], v[140:141] op_sel:[0,0,1] op_sel_hi:[1,0,0]
	v_pk_fma_f32 v[140:141], v[98:99], s[4:5], v[140:141] op_sel:[0,0,1] op_sel_hi:[1,0,0] neg_lo:[0,0,1] neg_hi:[0,0,1]
	v_mov_b32_e32 v144, v142
	v_mov_b32_e32 v145, v141
	v_pk_add_f32 v[134:135], v[144:145], v[134:135]
	v_pk_mul_f32 v[144:145], v[104:105], s[24:25] op_sel_hi:[1,0]
	v_pk_mul_f32 v[100:101], v[100:101], s[20:21] op_sel_hi:[1,0]
	v_pk_fma_f32 v[146:147], v[102:103], s[22:23], v[144:145] op_sel:[0,0,1] op_sel_hi:[1,0,0]
	v_pk_fma_f32 v[144:145], v[102:103], s[22:23], v[144:145] op_sel:[0,0,1] op_sel_hi:[1,0,0] neg_lo:[0,0,1] neg_hi:[0,0,1]
	v_mov_b32_e32 v148, v146
	v_mov_b32_e32 v149, v145
	v_pk_add_f32 v[134:135], v[148:149], v[134:135]
	v_pk_mul_f32 v[148:149], v[110:111], s[30:31] op_sel_hi:[1,0]
	v_mov_b32_e32 v13, v117
	v_pk_fma_f32 v[150:151], v[108:109], s[10:11], v[148:149] op_sel:[0,0,1] op_sel_hi:[1,0,0]
	v_pk_fma_f32 v[148:149], v[108:109], s[10:11], v[148:149] op_sel:[0,0,1] op_sel_hi:[1,0,0] neg_lo:[0,0,1] neg_hi:[0,0,1]
	v_mov_b32_e32 v152, v150
	v_mov_b32_e32 v153, v149
	v_pk_add_f32 v[134:135], v[152:153], v[134:135]
	v_pk_fma_f32 v[152:153], v[90:91], s[22:23], v[92:93] op_sel:[0,0,1] op_sel_hi:[1,0,0]
	v_pk_fma_f32 v[90:91], v[90:91], s[22:23], v[92:93] op_sel:[0,0,1] op_sel_hi:[1,0,0] neg_lo:[0,0,1] neg_hi:[0,0,1]
	v_pk_mul_f32 v[92:93], v[96:97], s[28:29] op_sel_hi:[1,0]
	v_mov_b32_e32 v137, v139
	v_pk_fma_f32 v[96:97], v[94:95], s[4:5], v[92:93] op_sel:[0,0,1] op_sel_hi:[1,0,0]
	v_pk_fma_f32 v[92:93], v[94:95], s[4:5], v[92:93] op_sel:[0,0,1] op_sel_hi:[1,0,0] neg_lo:[0,0,1] neg_hi:[0,0,1]
	v_mov_b32_e32 v94, v152
	v_mov_b32_e32 v95, v91
	v_pk_add_f32 v[94:95], v[0:1], v[94:95]
	v_mov_b32_e32 v154, v96
	v_mov_b32_e32 v155, v93
	v_pk_add_f32 v[94:95], v[154:155], v[94:95]
	v_pk_fma_f32 v[154:155], v[98:99], s[18:19], v[100:101] op_sel:[0,0,1] op_sel_hi:[1,0,0]
	v_pk_fma_f32 v[98:99], v[98:99], s[18:19], v[100:101] op_sel:[0,0,1] op_sel_hi:[1,0,0] neg_lo:[0,0,1] neg_hi:[0,0,1]
	v_mov_b32_e32 v100, v154
	v_mov_b32_e32 v101, v99
	v_pk_add_f32 v[94:95], v[100:101], v[94:95]
	v_pk_mul_f32 v[100:101], v[104:105], s[30:31] op_sel_hi:[1,0]
	v_mov_b32_e32 v91, v153
	v_pk_fma_f32 v[104:105], v[102:103], s[10:11], v[100:101] op_sel:[0,0,1] op_sel_hi:[1,0,0]
	v_pk_fma_f32 v[100:101], v[102:103], s[10:11], v[100:101] op_sel:[0,0,1] op_sel_hi:[1,0,0] neg_lo:[0,0,1] neg_hi:[0,0,1]
	v_mov_b32_e32 v102, v104
	v_mov_b32_e32 v103, v101
	;; [unrolled: 1-line block ×3, first 2 shown]
	v_pk_add_f32 v[90:91], v[0:1], v[90:91]
	v_pk_add_f32 v[12:13], v[0:1], v[12:13]
	;; [unrolled: 1-line block ×3, first 2 shown]
	v_pk_mul_f32 v[102:103], v[110:111], s[14:15] op_sel_hi:[1,0]
	v_pk_add_f32 v[90:91], v[92:93], v[90:91]
	v_mov_b32_e32 v99, v155
	v_pk_add_f32 v[12:13], v[136:137], v[12:13]
	v_mov_b32_e32 v141, v143
	v_pk_fma_f32 v[110:111], v[108:109], s[12:13], v[102:103] op_sel:[0,0,1] op_sel_hi:[1,0,0]
	v_pk_fma_f32 v[102:103], v[108:109], s[12:13], v[102:103] op_sel:[0,0,1] op_sel_hi:[1,0,0] neg_lo:[0,0,1] neg_hi:[0,0,1]
	v_pk_add_f32 v[90:91], v[98:99], v[90:91]
	v_mov_b32_e32 v101, v105
	v_pk_add_f32 v[12:13], v[140:141], v[12:13]
	v_mov_b32_e32 v145, v147
	v_mov_b32_e32 v109, v103
	v_pk_add_f32 v[90:91], v[100:101], v[90:91]
	v_mov_b32_e32 v103, v111
	v_pk_add_f32 v[12:13], v[144:145], v[12:13]
	;; [unrolled: 2-line block ×3, first 2 shown]
	v_pk_add_f32 v[12:13], v[148:149], v[12:13]
	v_mov_b32_e32 v113, v115
	v_mov_b32_e32 v5, v9
	v_mov_b32_e32 v61, v63
	ds_write2_b64 v76, v[90:91], v[12:13] offset0:6 offset1:7
	v_mov_b32_e32 v119, v121
	v_pk_add_f32 v[12:13], v[0:1], v[112:113]
	v_mov_b32_e32 v17, v21
	v_pk_add_f32 v[4:5], v[0:1], v[4:5]
	;; [unrolled: 2-line block ×3, first 2 shown]
	v_pk_add_f32 v[12:13], v[118:119], v[12:13]
	v_mov_b32_e32 v123, v125
	v_pk_add_f32 v[4:5], v[16:17], v[4:5]
	v_mov_b32_e32 v25, v29
	;; [unrolled: 2-line block ×6, first 2 shown]
	v_mov_b32_e32 v108, v110
	v_pk_add_f32 v[12:13], v[126:127], v[12:13]
	v_mov_b32_e32 v131, v133
	v_pk_add_f32 v[4:5], v[32:33], v[4:5]
	;; [unrolled: 2-line block ×4, first 2 shown]
	v_pk_add_f32 v[12:13], v[130:131], v[12:13]
	v_pk_add_f32 v[4:5], v[40:41], v[4:5]
	;; [unrolled: 1-line block ×3, first 2 shown]
	s_movk_i32 s13, 0x2000
	s_movk_i32 s5, 0x3000
	ds_write2_b64 v76, v[134:135], v[94:95] offset0:4 offset1:5
	ds_write2_b64 v76, v[12:13], v[4:5] offset0:8 offset1:9
	ds_write_b64 v76, v[0:1] offset:80
	s_and_saveexec_b64 s[38:39], vcc
	s_cbranch_execz .LBB0_21
; %bb.20:
	v_pk_add_f32 v[0:1], v[2:3], v[6:7]
	v_mul_u32_u24_e32 v4, 0x50, v46
	v_pk_add_f32 v[0:1], v[0:1], v[10:11]
	v_pk_add_f32 v[20:21], v[14:15], v[6:7]
	;; [unrolled: 1-line block ×3, first 2 shown]
	v_add_u32_e32 v63, v80, v4
	v_pk_add_f32 v[0:1], v[0:1], v[34:35]
	v_pk_add_f32 v[24:25], v[18:19], v[10:11]
	;; [unrolled: 1-line block ×5, first 2 shown]
	v_pk_add_f32 v[22:23], v[22:23], v[26:27] neg_lo:[0,1] neg_hi:[0,1]
	v_pk_add_f32 v[0:1], v[0:1], v[30:31]
	v_pk_add_f32 v[32:33], v[42:43], v[38:39]
	;; [unrolled: 1-line block ×5, first 2 shown]
	v_pk_add_f32 v[18:19], v[10:11], v[18:19] neg_lo:[0,1] neg_hi:[0,1]
	v_pk_add_f32 v[16:17], v[0:1], v[14:15]
	v_pk_add_f32 v[14:15], v[6:7], v[14:15] neg_lo:[0,1] neg_hi:[0,1]
	v_pk_mul_f32 v[8:9], v[18:19], s[26:27] op_sel_hi:[1,0]
	v_pk_mul_f32 v[4:5], v[14:15], s[16:17] op_sel_hi:[1,0]
	v_pk_add_f32 v[30:31], v[34:35], v[30:31] neg_lo:[0,1] neg_hi:[0,1]
	v_pk_fma_f32 v[0:1], v[20:21], s[4:5], v[4:5] op_sel:[0,0,1] op_sel_hi:[1,0,0]
	v_pk_fma_f32 v[4:5], v[20:21], s[4:5], v[4:5] op_sel:[0,0,1] op_sel_hi:[1,0,0] neg_lo:[0,0,1] neg_hi:[0,0,1]
	v_mov_b32_e32 v6, v0
	v_mov_b32_e32 v7, v5
	v_pk_add_f32 v[10:11], v[2:3], v[6:7]
	v_pk_fma_f32 v[6:7], v[24:25], s[10:11], v[8:9] op_sel:[0,0,1] op_sel_hi:[1,0,0]
	v_pk_fma_f32 v[8:9], v[24:25], s[10:11], v[8:9] op_sel:[0,0,1] op_sel_hi:[1,0,0] neg_lo:[0,0,1] neg_hi:[0,0,1]
	v_mov_b32_e32 v12, v6
	v_mov_b32_e32 v13, v9
	v_pk_add_f32 v[36:37], v[12:13], v[10:11]
	v_pk_mul_f32 v[12:13], v[22:23], s[14:15] op_sel_hi:[1,0]
	v_pk_add_f32 v[34:35], v[38:39], v[42:43] neg_lo:[0,1] neg_hi:[0,1]
	v_pk_fma_f32 v[10:11], v[28:29], s[12:13], v[12:13] op_sel:[0,0,1] op_sel_hi:[1,0,0]
	v_pk_fma_f32 v[12:13], v[28:29], s[12:13], v[12:13] op_sel:[0,0,1] op_sel_hi:[1,0,0] neg_lo:[0,0,1] neg_hi:[0,0,1]
	v_mov_b32_e32 v38, v10
	v_mov_b32_e32 v39, v13
	v_pk_add_f32 v[36:37], v[38:39], v[36:37]
	v_pk_mul_f32 v[38:39], v[30:31], s[20:21] op_sel_hi:[1,0]
	v_add_u32_e32 v67, 0x2208, v63
	v_pk_fma_f32 v[40:41], v[26:27], s[18:19], v[38:39] op_sel:[0,0,1] op_sel_hi:[1,0,0]
	v_pk_fma_f32 v[38:39], v[26:27], s[18:19], v[38:39] op_sel:[0,0,1] op_sel_hi:[1,0,0] neg_lo:[0,0,1] neg_hi:[0,0,1]
	v_mov_b32_e32 v42, v40
	v_mov_b32_e32 v43, v39
	v_pk_add_f32 v[36:37], v[42:43], v[36:37]
	v_pk_mul_f32 v[42:43], v[34:35], s[24:25] op_sel_hi:[1,0]
	v_pk_mul_f32 v[70:71], v[18:19], s[20:21] op_sel_hi:[1,0]
	v_pk_fma_f32 v[60:61], v[32:33], s[22:23], v[42:43] op_sel:[0,0,1] op_sel_hi:[1,0,0]
	v_pk_fma_f32 v[42:43], v[32:33], s[22:23], v[42:43] op_sel:[0,0,1] op_sel_hi:[1,0,0] neg_lo:[0,0,1] neg_hi:[0,0,1]
	v_mov_b32_e32 v64, v60
	v_mov_b32_e32 v65, v43
	v_pk_add_f32 v[36:37], v[64:65], v[36:37]
	ds_write2_b64 v67, v[16:17], v[36:37] offset1:1
	v_pk_mul_f32 v[16:17], v[14:15], s[26:27] op_sel_hi:[1,0]
	v_pk_fma_f32 v[74:75], v[24:25], s[18:19], v[70:71] op_sel:[0,0,1] op_sel_hi:[1,0,0]
	v_pk_fma_f32 v[36:37], v[20:21], s[10:11], v[16:17] op_sel:[0,0,1] op_sel_hi:[1,0,0]
	v_pk_fma_f32 v[16:17], v[20:21], s[10:11], v[16:17] op_sel:[0,0,1] op_sel_hi:[1,0,0] neg_lo:[0,0,1] neg_hi:[0,0,1]
	v_mov_b32_e32 v64, v36
	v_mov_b32_e32 v65, v17
	v_pk_fma_f32 v[70:71], v[24:25], s[18:19], v[70:71] op_sel:[0,0,1] op_sel_hi:[1,0,0] neg_lo:[0,0,1] neg_hi:[0,0,1]
	v_pk_add_f32 v[64:65], v[2:3], v[64:65]
	v_mov_b32_e32 v76, v74
	v_mov_b32_e32 v77, v71
	v_pk_add_f32 v[64:65], v[76:77], v[64:65]
	v_pk_mul_f32 v[76:77], v[22:23], s[36:37] op_sel_hi:[1,0]
	v_pk_mul_f32 v[104:105], v[18:19], s[36:37] op_sel_hi:[1,0]
	v_pk_fma_f32 v[78:79], v[28:29], s[22:23], v[76:77] op_sel:[0,0,1] op_sel_hi:[1,0,0]
	v_pk_fma_f32 v[76:77], v[28:29], s[22:23], v[76:77] op_sel:[0,0,1] op_sel_hi:[1,0,0] neg_lo:[0,0,1] neg_hi:[0,0,1]
	v_mov_b32_e32 v90, v78
	v_mov_b32_e32 v91, v77
	v_pk_add_f32 v[64:65], v[90:91], v[64:65]
	v_pk_mul_f32 v[90:91], v[30:31], s[34:35] op_sel_hi:[1,0]
	v_pk_fma_f32 v[106:107], v[24:25], s[22:23], v[104:105] op_sel:[0,0,1] op_sel_hi:[1,0,0]
	v_pk_fma_f32 v[92:93], v[26:27], s[12:13], v[90:91] op_sel:[0,0,1] op_sel_hi:[1,0,0]
	v_pk_fma_f32 v[90:91], v[26:27], s[12:13], v[90:91] op_sel:[0,0,1] op_sel_hi:[1,0,0] neg_lo:[0,0,1] neg_hi:[0,0,1]
	v_mov_b32_e32 v94, v92
	v_mov_b32_e32 v95, v91
	v_pk_add_f32 v[64:65], v[94:95], v[64:65]
	v_pk_mul_f32 v[94:95], v[34:35], s[28:29] op_sel_hi:[1,0]
	v_pk_fma_f32 v[104:105], v[24:25], s[22:23], v[104:105] op_sel:[0,0,1] op_sel_hi:[1,0,0] neg_lo:[0,0,1] neg_hi:[0,0,1]
	v_pk_fma_f32 v[96:97], v[32:33], s[4:5], v[94:95] op_sel:[0,0,1] op_sel_hi:[1,0,0]
	v_pk_fma_f32 v[94:95], v[32:33], s[4:5], v[94:95] op_sel:[0,0,1] op_sel_hi:[1,0,0] neg_lo:[0,0,1] neg_hi:[0,0,1]
	v_mov_b32_e32 v98, v96
	v_mov_b32_e32 v99, v95
	v_pk_add_f32 v[64:65], v[98:99], v[64:65]
	v_pk_mul_f32 v[98:99], v[14:15], s[14:15] op_sel_hi:[1,0]
	v_mov_b32_e32 v108, v106
	v_pk_fma_f32 v[100:101], v[20:21], s[12:13], v[98:99] op_sel:[0,0,1] op_sel_hi:[1,0,0]
	v_pk_fma_f32 v[98:99], v[20:21], s[12:13], v[98:99] op_sel:[0,0,1] op_sel_hi:[1,0,0] neg_lo:[0,0,1] neg_hi:[0,0,1]
	v_mov_b32_e32 v102, v100
	v_mov_b32_e32 v103, v99
	v_pk_add_f32 v[102:103], v[2:3], v[102:103]
	v_mov_b32_e32 v109, v105
	v_pk_add_f32 v[102:103], v[108:109], v[102:103]
	v_pk_mul_f32 v[108:109], v[22:23], s[30:31] op_sel_hi:[1,0]
	v_add_u32_e32 v0, 0x2218, v63
	v_pk_fma_f32 v[110:111], v[28:29], s[10:11], v[108:109] op_sel:[0,0,1] op_sel_hi:[1,0,0]
	v_pk_fma_f32 v[108:109], v[28:29], s[10:11], v[108:109] op_sel:[0,0,1] op_sel_hi:[1,0,0] neg_lo:[0,0,1] neg_hi:[0,0,1]
	v_mov_b32_e32 v112, v110
	v_mov_b32_e32 v113, v109
	v_pk_add_f32 v[102:103], v[112:113], v[102:103]
	v_pk_mul_f32 v[112:113], v[30:31], s[16:17] op_sel_hi:[1,0]
	v_pk_mul_f32 v[122:123], v[18:19], s[34:35] op_sel_hi:[1,0]
	v_pk_fma_f32 v[114:115], v[26:27], s[4:5], v[112:113] op_sel:[0,0,1] op_sel_hi:[1,0,0]
	v_pk_fma_f32 v[112:113], v[26:27], s[4:5], v[112:113] op_sel:[0,0,1] op_sel_hi:[1,0,0] neg_lo:[0,0,1] neg_hi:[0,0,1]
	v_mov_b32_e32 v116, v114
	v_mov_b32_e32 v117, v113
	v_pk_add_f32 v[102:103], v[116:117], v[102:103]
	v_pk_mul_f32 v[116:117], v[34:35], s[20:21] op_sel_hi:[1,0]
	v_pk_fma_f32 v[124:125], v[24:25], s[12:13], v[122:123] op_sel:[0,0,1] op_sel_hi:[1,0,0]
	v_pk_fma_f32 v[118:119], v[32:33], s[18:19], v[116:117] op_sel:[0,0,1] op_sel_hi:[1,0,0]
	v_pk_fma_f32 v[116:117], v[32:33], s[18:19], v[116:117] op_sel:[0,0,1] op_sel_hi:[1,0,0] neg_lo:[0,0,1] neg_hi:[0,0,1]
	v_mov_b32_e32 v120, v118
	v_mov_b32_e32 v121, v117
	v_pk_add_f32 v[102:103], v[120:121], v[102:103]
	ds_write2_b64 v0, v[64:65], v[102:103] offset1:1
	v_pk_mul_f32 v[64:65], v[14:15], s[20:21] op_sel_hi:[1,0]
	v_pk_fma_f32 v[122:123], v[24:25], s[12:13], v[122:123] op_sel:[0,0,1] op_sel_hi:[1,0,0] neg_lo:[0,0,1] neg_hi:[0,0,1]
	v_pk_fma_f32 v[102:103], v[20:21], s[18:19], v[64:65] op_sel:[0,0,1] op_sel_hi:[1,0,0]
	v_pk_fma_f32 v[64:65], v[20:21], s[18:19], v[64:65] op_sel:[0,0,1] op_sel_hi:[1,0,0] neg_lo:[0,0,1] neg_hi:[0,0,1]
	v_mov_b32_e32 v120, v102
	v_mov_b32_e32 v121, v65
	v_pk_add_f32 v[120:121], v[2:3], v[120:121]
	v_mov_b32_e32 v126, v124
	v_mov_b32_e32 v127, v123
	v_pk_add_f32 v[120:121], v[126:127], v[120:121]
	v_pk_mul_f32 v[126:127], v[22:23], s[16:17] op_sel_hi:[1,0]
	v_pk_mul_f32 v[14:15], v[14:15], s[24:25] op_sel_hi:[1,0]
	v_pk_fma_f32 v[128:129], v[28:29], s[4:5], v[126:127] op_sel:[0,0,1] op_sel_hi:[1,0,0]
	v_pk_fma_f32 v[126:127], v[28:29], s[4:5], v[126:127] op_sel:[0,0,1] op_sel_hi:[1,0,0] neg_lo:[0,0,1] neg_hi:[0,0,1]
	v_mov_b32_e32 v130, v128
	v_mov_b32_e32 v131, v127
	v_pk_add_f32 v[120:121], v[130:131], v[120:121]
	v_pk_mul_f32 v[130:131], v[30:31], s[24:25] op_sel_hi:[1,0]
	v_pk_mul_f32 v[18:19], v[18:19], s[28:29] op_sel_hi:[1,0]
	v_pk_fma_f32 v[132:133], v[26:27], s[22:23], v[130:131] op_sel:[0,0,1] op_sel_hi:[1,0,0]
	v_pk_fma_f32 v[130:131], v[26:27], s[22:23], v[130:131] op_sel:[0,0,1] op_sel_hi:[1,0,0] neg_lo:[0,0,1] neg_hi:[0,0,1]
	v_mov_b32_e32 v134, v132
	v_mov_b32_e32 v135, v131
	v_pk_add_f32 v[120:121], v[134:135], v[120:121]
	v_pk_mul_f32 v[134:135], v[34:35], s[30:31] op_sel_hi:[1,0]
	v_pk_fma_f32 v[140:141], v[24:25], s[4:5], v[18:19] op_sel:[0,0,1] op_sel_hi:[1,0,0]
	v_pk_fma_f32 v[136:137], v[32:33], s[10:11], v[134:135] op_sel:[0,0,1] op_sel_hi:[1,0,0]
	v_pk_fma_f32 v[134:135], v[32:33], s[10:11], v[134:135] op_sel:[0,0,1] op_sel_hi:[1,0,0] neg_lo:[0,0,1] neg_hi:[0,0,1]
	v_mov_b32_e32 v138, v136
	v_mov_b32_e32 v139, v135
	v_pk_add_f32 v[120:121], v[138:139], v[120:121]
	v_pk_fma_f32 v[138:139], v[20:21], s[22:23], v[14:15] op_sel:[0,0,1] op_sel_hi:[1,0,0]
	v_pk_fma_f32 v[14:15], v[20:21], s[22:23], v[14:15] op_sel:[0,0,1] op_sel_hi:[1,0,0] neg_lo:[0,0,1] neg_hi:[0,0,1]
	v_mov_b32_e32 v20, v138
	v_mov_b32_e32 v21, v15
	v_pk_fma_f32 v[18:19], v[24:25], s[4:5], v[18:19] op_sel:[0,0,1] op_sel_hi:[1,0,0] neg_lo:[0,0,1] neg_hi:[0,0,1]
	v_pk_add_f32 v[20:21], v[2:3], v[20:21]
	v_mov_b32_e32 v24, v140
	v_mov_b32_e32 v25, v19
	v_pk_mul_f32 v[22:23], v[22:23], s[20:21] op_sel_hi:[1,0]
	v_pk_add_f32 v[20:21], v[24:25], v[20:21]
	v_pk_fma_f32 v[24:25], v[28:29], s[18:19], v[22:23] op_sel:[0,0,1] op_sel_hi:[1,0,0]
	v_pk_fma_f32 v[22:23], v[28:29], s[18:19], v[22:23] op_sel:[0,0,1] op_sel_hi:[1,0,0] neg_lo:[0,0,1] neg_hi:[0,0,1]
	v_mov_b32_e32 v28, v24
	v_mov_b32_e32 v29, v23
	v_pk_add_f32 v[20:21], v[28:29], v[20:21]
	v_pk_mul_f32 v[28:29], v[30:31], s[30:31] op_sel_hi:[1,0]
	v_mov_b32_e32 v15, v139
	v_pk_fma_f32 v[30:31], v[26:27], s[10:11], v[28:29] op_sel:[0,0,1] op_sel_hi:[1,0,0]
	v_pk_fma_f32 v[26:27], v[26:27], s[10:11], v[28:29] op_sel:[0,0,1] op_sel_hi:[1,0,0] neg_lo:[0,0,1] neg_hi:[0,0,1]
	v_mov_b32_e32 v28, v30
	v_mov_b32_e32 v29, v27
	v_pk_add_f32 v[14:15], v[2:3], v[14:15]
	v_mov_b32_e32 v19, v141
	v_mov_b32_e32 v65, v103
	v_pk_add_f32 v[20:21], v[28:29], v[20:21]
	v_pk_mul_f32 v[28:29], v[34:35], s[14:15] op_sel_hi:[1,0]
	v_pk_add_f32 v[14:15], v[18:19], v[14:15]
	v_pk_add_f32 v[18:19], v[2:3], v[64:65]
	v_mov_b32_e32 v123, v125
	v_pk_fma_f32 v[34:35], v[32:33], s[12:13], v[28:29] op_sel:[0,0,1] op_sel_hi:[1,0,0]
	v_pk_fma_f32 v[28:29], v[32:33], s[12:13], v[28:29] op_sel:[0,0,1] op_sel_hi:[1,0,0] neg_lo:[0,0,1] neg_hi:[0,0,1]
	v_mov_b32_e32 v23, v25
	v_pk_add_f32 v[18:19], v[122:123], v[18:19]
	v_mov_b32_e32 v127, v129
	v_mov_b32_e32 v32, v34
	;; [unrolled: 1-line block ×3, first 2 shown]
	v_pk_add_f32 v[14:15], v[22:23], v[14:15]
	v_mov_b32_e32 v27, v31
	v_pk_add_f32 v[18:19], v[126:127], v[18:19]
	v_mov_b32_e32 v131, v133
	v_add_u32_e32 v0, 0x2228, v63
	v_pk_add_f32 v[20:21], v[32:33], v[20:21]
	v_pk_add_f32 v[14:15], v[26:27], v[14:15]
	v_mov_b32_e32 v29, v35
	v_pk_add_f32 v[18:19], v[130:131], v[18:19]
	v_mov_b32_e32 v135, v137
	ds_write2_b64 v0, v[120:121], v[20:21] offset1:1
	v_pk_add_f32 v[14:15], v[28:29], v[14:15]
	v_add_u32_e32 v0, 0x2238, v63
	v_pk_add_f32 v[18:19], v[134:135], v[18:19]
	v_mov_b32_e32 v99, v101
	v_mov_b32_e32 v17, v37
	ds_write2_b64 v0, v[14:15], v[18:19] offset1:1
	v_pk_add_f32 v[14:15], v[2:3], v[98:99]
	v_mov_b32_e32 v105, v107
	v_pk_add_f32 v[16:17], v[2:3], v[16:17]
	v_mov_b32_e32 v71, v75
	;; [unrolled: 2-line block ×8, first 2 shown]
	v_pk_add_f32 v[14:15], v[116:117], v[14:15]
	v_add_u32_e32 v0, 0x2248, v63
	v_pk_add_f32 v[16:17], v[94:95], v[16:17]
	v_mov_b32_e32 v5, v1
	ds_write2_b64 v0, v[14:15], v[16:17] offset1:1
	v_pk_add_f32 v[0:1], v[2:3], v[4:5]
	v_mov_b32_e32 v9, v7
	v_pk_add_f32 v[0:1], v[8:9], v[0:1]
	v_mov_b32_e32 v13, v11
	;; [unrolled: 2-line block ×4, first 2 shown]
	v_pk_add_f32 v[0:1], v[42:43], v[0:1]
	ds_write_b64 v63, v[0:1] offset:8792
.LBB0_21:
	s_or_b64 exec, exec, s[38:39]
	s_mov_b32 s4, 0xba2f
	v_mul_u32_u24_sdwa v0, v56, s4 dst_sel:DWORD dst_unused:UNUSED_PAD src0_sel:WORD_0 src1_sel:DWORD
	v_lshrrev_b32_e32 v0, 19, v0
	v_mul_lo_u16_e32 v1, 11, v0
	v_sub_u16_e32 v1, v56, v1
	v_lshlrev_b32_e32 v2, 4, v1
	s_waitcnt lgkmcnt(0)
	s_barrier
	global_load_dwordx4 v[4:7], v2, s[8:9]
	v_mul_u32_u24_sdwa v2, v58, s4 dst_sel:DWORD dst_unused:UNUSED_PAD src0_sel:WORD_0 src1_sel:DWORD
	v_lshrrev_b32_e32 v40, 19, v2
	v_mul_lo_u16_e32 v2, 11, v40
	v_sub_u16_e32 v60, v58, v2
	v_lshlrev_b32_e32 v2, 4, v60
	global_load_dwordx4 v[8:11], v2, s[8:9]
	v_mul_u32_u24_sdwa v2, v54, s4 dst_sel:DWORD dst_unused:UNUSED_PAD src0_sel:WORD_0 src1_sel:DWORD
	v_mul_u32_u24_sdwa v12, v52, s4 dst_sel:DWORD dst_unused:UNUSED_PAD src0_sel:WORD_0 src1_sel:DWORD
	v_lshrrev_b32_e32 v36, 19, v2
	v_lshrrev_b32_e32 v37, 19, v12
	v_mul_lo_u16_e32 v2, 11, v36
	v_mul_lo_u16_e32 v12, 11, v37
	v_sub_u16_e32 v61, v54, v2
	v_sub_u16_e32 v63, v52, v12
	v_lshlrev_b32_e32 v2, 4, v61
	v_add_u32_e32 v3, 0x63, v46
	v_lshlrev_b32_e32 v20, 4, v63
	global_load_dwordx4 v[12:15], v2, s[8:9]
	global_load_dwordx4 v[16:19], v20, s[8:9]
	s_movk_i32 s4, 0x75
	v_mul_lo_u16_sdwa v41, v46, s4 dst_sel:DWORD dst_unused:UNUSED_PAD src0_sel:BYTE_0 src1_sel:DWORD
	v_mul_lo_u16_sdwa v38, v3, s4 dst_sel:DWORD dst_unused:UNUSED_PAD src0_sel:BYTE_0 src1_sel:DWORD
	v_sub_u16_sdwa v39, v46, v41 dst_sel:DWORD dst_unused:UNUSED_PAD src0_sel:DWORD src1_sel:BYTE_1
	v_sub_u16_sdwa v42, v3, v38 dst_sel:DWORD dst_unused:UNUSED_PAD src0_sel:DWORD src1_sel:BYTE_1
	s_mov_b32 s10, 0x5040100
	v_lshrrev_b16_e32 v43, 1, v39
	v_lshrrev_b16_e32 v39, 1, v42
	v_perm_b32 v42, v37, v36, s10
	v_and_b32_e32 v36, 0x7f, v39
	v_add_u16_sdwa v36, v36, v38 dst_sel:DWORD dst_unused:UNUSED_PAD src0_sel:DWORD src1_sel:BYTE_1
	v_lshrrev_b16_e32 v64, 3, v36
	v_mul_lo_u16_e32 v36, 11, v64
	v_mov_b32_e32 v67, 4
	v_sub_u16_e32 v65, v3, v36
	v_perm_b32 v0, v0, v40, s10
	v_and_b32_e32 v40, 0x7f, v43
	v_lshlrev_b32_sdwa v36, v67, v65 dst_sel:DWORD dst_unused:UNUSED_PAD src0_sel:DWORD src1_sel:BYTE_0
	v_add_u16_sdwa v40, v40, v41 dst_sel:DWORD dst_unused:UNUSED_PAD src0_sel:DWORD src1_sel:BYTE_1
	ds_read2_b64 v[20:23], v62 offset0:82 offset1:181
	v_add_u32_e32 v2, 0x2400, v80
	ds_read2_b64 v[24:27], v72 offset0:94 offset1:193
	ds_read2_b64 v[28:31], v86 offset0:48 offset1:147
	;; [unrolled: 1-line block ×3, first 2 shown]
	global_load_dwordx4 v[36:39], v36, s[8:9]
	v_lshrrev_b16_e32 v73, 3, v40
	v_mul_lo_u16_e32 v40, 11, v73
	v_sub_u16_e32 v74, v46, v40
	s_movk_i32 s12, 0x108
	v_lshlrev_b32_sdwa v40, v67, v74 dst_sel:DWORD dst_unused:UNUSED_PAD src0_sel:DWORD src1_sel:BYTE_0
	v_pk_mul_lo_u16 v70, v42, s12 op_sel_hi:[1,0]
	global_load_dwordx4 v[40:43], v40, s[8:9]
	v_pk_mul_lo_u16 v0, v0, s12 op_sel_hi:[1,0]
	v_mov_b32_e32 v69, 3
	v_and_b32_e32 v71, 0xfff8, v70
	v_lshlrev_b32_e32 v61, 3, v61
	v_and_b32_e32 v75, 0xfff8, v0
	v_lshlrev_b32_e32 v60, 3, v60
	v_lshrrev_b32_e32 v0, 16, v0
	v_lshlrev_b32_e32 v1, 3, v1
	v_add3_u32 v89, 0, v71, v61
	v_add3_u32 v92, 0, v75, v60
	;; [unrolled: 1-line block ×3, first 2 shown]
	v_mul_u32_u24_e32 v0, 0x108, v73
	v_mul_u32_u24_e32 v1, 0x108, v64
	v_lshlrev_b32_sdwa v60, v69, v74 dst_sel:DWORD dst_unused:UNUSED_PAD src0_sel:DWORD src1_sel:BYTE_0
	v_lshlrev_b32_sdwa v61, v69, v65 dst_sel:DWORD dst_unused:UNUSED_PAD src0_sel:DWORD src1_sel:BYTE_0
	v_add3_u32 v73, 0, v0, v60
	v_add3_u32 v94, 0, v1, v61
	v_lshrrev_b32_e32 v70, 16, v70
	v_lshlrev_b32_e32 v63, 3, v63
	v_add3_u32 v63, 0, v70, v63
	s_mov_b32 s4, 0x3f5db3d7
	s_mov_b32 s12, 0xf83f
	s_waitcnt vmcnt(5) lgkmcnt(2)
	v_pk_mul_f32 v[0:1], v[26:27], v[4:5] op_sel:[0,1]
	s_nop 0
	v_pk_fma_f32 v[64:65], v[26:27], v[4:5], v[0:1] op_sel:[0,0,1] op_sel_hi:[1,1,0]
	v_pk_fma_f32 v[0:1], v[26:27], v[4:5], v[0:1] op_sel:[0,0,1] op_sel_hi:[1,0,0] neg_lo:[0,0,1] neg_hi:[0,0,1]
	v_mov_b32_e32 v60, v7
	v_mov_b32_e32 v65, v1
	ds_read_b64 v[0:1], v84
	s_waitcnt lgkmcnt(2)
	v_pk_mul_f32 v[4:5], v[30:31], v[60:61] op_sel_hi:[1,0]
	s_nop 0
	v_pk_fma_f32 v[26:27], v[30:31], v[6:7], v[4:5] op_sel:[0,0,1] op_sel_hi:[1,1,0]
	v_pk_fma_f32 v[4:5], v[30:31], v[6:7], v[4:5] op_sel:[0,0,1] op_sel_hi:[1,0,0] neg_lo:[0,0,1] neg_hi:[0,0,1]
	ds_read_b64 v[30:31], v83
	v_mov_b32_e32 v27, v5
	s_waitcnt lgkmcnt(1)
	v_pk_add_f32 v[4:5], v[0:1], v[64:65]
	s_nop 0
	v_pk_add_f32 v[60:61], v[4:5], v[26:27]
	s_waitcnt vmcnt(4)
	v_pk_mul_f32 v[4:5], v[24:25], v[8:9] op_sel:[0,1]
	s_nop 0
	v_pk_fma_f32 v[70:71], v[24:25], v[8:9], v[4:5] op_sel:[0,0,1] op_sel_hi:[1,1,0]
	v_pk_fma_f32 v[4:5], v[24:25], v[8:9], v[4:5] op_sel:[0,0,1] op_sel_hi:[1,0,0] neg_lo:[0,0,1] neg_hi:[0,0,1]
	s_nop 0
	v_mov_b32_e32 v4, v11
	v_mov_b32_e32 v71, v5
	v_pk_mul_f32 v[4:5], v[28:29], v[4:5] op_sel_hi:[1,0]
	s_waitcnt lgkmcnt(0)
	v_pk_add_f32 v[8:9], v[30:31], v[70:71]
	v_pk_fma_f32 v[24:25], v[28:29], v[10:11], v[4:5] op_sel:[0,0,1] op_sel_hi:[1,1,0]
	v_pk_fma_f32 v[4:5], v[28:29], v[10:11], v[4:5] op_sel:[0,0,1] op_sel_hi:[1,0,0] neg_lo:[0,0,1] neg_hi:[0,0,1]
	s_nop 0
	v_mov_b32_e32 v25, v5
	ds_read2_b64 v[4:7], v68 offset0:24 offset1:123
	ds_read_b64 v[28:29], v81
	v_pk_add_f32 v[74:75], v[8:9], v[24:25]
	ds_read2_b64 v[8:11], v66 offset0:106 offset1:205
	s_waitcnt vmcnt(2) lgkmcnt(2)
	v_pk_mul_f32 v[76:77], v[6:7], v[16:17] op_sel:[0,1]
	s_nop 0
	v_pk_fma_f32 v[78:79], v[6:7], v[16:17], v[76:77] op_sel:[0,0,1] op_sel_hi:[1,1,0]
	v_pk_fma_f32 v[6:7], v[6:7], v[16:17], v[76:77] op_sel:[0,0,1] op_sel_hi:[1,0,0] neg_lo:[0,0,1] neg_hi:[0,0,1]
	s_nop 0
	v_mov_b32_e32 v6, v19
	v_mov_b32_e32 v79, v7
	s_waitcnt lgkmcnt(0)
	v_pk_mul_f32 v[6:7], v[10:11], v[6:7] op_sel_hi:[1,0]
	s_nop 0
	v_pk_fma_f32 v[16:17], v[10:11], v[18:19], v[6:7] op_sel:[0,0,1] op_sel_hi:[1,1,0]
	v_pk_fma_f32 v[6:7], v[10:11], v[18:19], v[6:7] op_sel:[0,0,1] op_sel_hi:[1,0,0] neg_lo:[0,0,1] neg_hi:[0,0,1]
	ds_read_b64 v[10:11], v82
	v_mov_b32_e32 v17, v7
	v_pk_add_f32 v[6:7], v[28:29], v[78:79]
	s_nop 0
	v_pk_add_f32 v[18:19], v[6:7], v[16:17]
	v_pk_mul_f32 v[6:7], v[4:5], v[12:13] op_sel:[0,1]
	s_nop 0
	v_pk_fma_f32 v[76:77], v[4:5], v[12:13], v[6:7] op_sel:[0,0,1] op_sel_hi:[1,1,0]
	v_pk_fma_f32 v[4:5], v[4:5], v[12:13], v[6:7] op_sel:[0,0,1] op_sel_hi:[1,0,0] neg_lo:[0,0,1] neg_hi:[0,0,1]
	s_nop 0
	v_mov_b32_e32 v4, v15
	v_mov_b32_e32 v77, v5
	v_pk_mul_f32 v[4:5], v[8:9], v[4:5] op_sel_hi:[1,0]
	s_nop 0
	v_pk_fma_f32 v[12:13], v[8:9], v[14:15], v[4:5] op_sel:[0,0,1] op_sel_hi:[1,1,0]
	v_pk_fma_f32 v[4:5], v[8:9], v[14:15], v[4:5] op_sel:[0,0,1] op_sel_hi:[1,0,0] neg_lo:[0,0,1] neg_hi:[0,0,1]
	s_waitcnt vmcnt(1)
	v_pk_mul_f32 v[14:15], v[36:37], v[22:23] op_sel:[0,1]
	v_mov_b32_e32 v13, v5
	v_pk_fma_f32 v[90:91], v[36:37], v[22:23], v[14:15] op_sel:[0,0,1] op_sel_hi:[1,1,0]
	v_pk_fma_f32 v[14:15], v[36:37], v[22:23], v[14:15] op_sel:[0,0,1] op_sel_hi:[1,0,0] neg_lo:[1,0,0] neg_hi:[1,0,0]
	s_waitcnt lgkmcnt(0)
	v_pk_add_f32 v[4:5], v[10:11], v[76:77]
	v_mov_b32_e32 v14, v39
	v_mov_b32_e32 v91, v15
	v_pk_mul_f32 v[14:15], v[34:35], v[14:15] op_sel_hi:[1,0]
	v_pk_add_f32 v[8:9], v[4:5], v[12:13]
	v_pk_fma_f32 v[22:23], v[34:35], v[38:39], v[14:15] op_sel:[0,0,1] op_sel_hi:[1,1,0]
	v_pk_fma_f32 v[14:15], v[34:35], v[38:39], v[14:15] op_sel:[0,0,1] op_sel_hi:[1,0,0] neg_lo:[0,0,1] neg_hi:[0,0,1]
	s_waitcnt vmcnt(0)
	v_pk_mul_f32 v[34:35], v[40:41], v[20:21] op_sel:[0,1]
	ds_read2_b64 v[4:7], v80 offset1:99
	v_pk_fma_f32 v[36:37], v[40:41], v[20:21], v[34:35] op_sel:[0,0,1] op_sel_hi:[1,1,0]
	v_pk_fma_f32 v[20:21], v[40:41], v[20:21], v[34:35] op_sel:[0,0,1] op_sel_hi:[1,0,0] neg_lo:[1,0,0] neg_hi:[1,0,0]
	v_mov_b32_e32 v23, v15
	v_mov_b32_e32 v37, v21
	v_pk_mul_f32 v[20:21], v[42:43], v[32:33] op_sel:[0,1]
	s_waitcnt lgkmcnt(0)
	v_pk_fma_f32 v[34:35], v[42:43], v[32:33], v[20:21] op_sel:[0,0,1] op_sel_hi:[1,1,0]
	v_pk_fma_f32 v[20:21], v[42:43], v[32:33], v[20:21] op_sel:[0,0,1] op_sel_hi:[1,0,0] neg_lo:[1,0,0] neg_hi:[1,0,0]
	s_barrier
	v_mov_b32_e32 v35, v21
	v_pk_add_f32 v[32:33], v[36:37], v[34:35]
	v_pk_add_f32 v[20:21], v[4:5], v[36:37]
	v_pk_fma_f32 v[4:5], v[32:33], 0.5, v[4:5] op_sel_hi:[1,0,1] neg_lo:[1,0,0] neg_hi:[1,0,0]
	v_pk_add_f32 v[32:33], v[36:37], v[34:35] neg_lo:[0,1] neg_hi:[0,1]
	v_pk_add_f32 v[20:21], v[20:21], v[34:35]
	v_pk_mul_f32 v[32:33], v[32:33], s[4:5] op_sel_hi:[1,0]
	s_nop 0
	v_pk_add_f32 v[34:35], v[4:5], v[32:33] op_sel:[0,1] op_sel_hi:[1,0] neg_lo:[0,1] neg_hi:[0,1]
	v_pk_add_f32 v[4:5], v[4:5], v[32:33] op_sel:[0,1] op_sel_hi:[1,0]
	v_pk_add_f32 v[14:15], v[6:7], v[90:91]
	v_mov_b32_e32 v33, v5
	v_mov_b32_e32 v5, v35
	ds_write_b64 v73, v[4:5] offset:176
	v_pk_add_f32 v[4:5], v[90:91], v[22:23]
	v_mov_b32_e32 v32, v34
	v_pk_fma_f32 v[4:5], v[4:5], 0.5, v[6:7] op_sel_hi:[1,0,1] neg_lo:[1,0,0] neg_hi:[1,0,0]
	v_pk_add_f32 v[6:7], v[90:91], v[22:23] neg_lo:[0,1] neg_hi:[0,1]
	ds_write2_b64 v73, v[20:21], v[32:33] offset1:11
	v_pk_mul_f32 v[6:7], v[6:7], s[4:5] op_sel_hi:[1,0]
	v_pk_add_f32 v[14:15], v[14:15], v[22:23]
	v_pk_add_f32 v[20:21], v[4:5], v[6:7] op_sel:[0,1] op_sel_hi:[1,0] neg_lo:[0,1] neg_hi:[0,1]
	v_pk_add_f32 v[4:5], v[4:5], v[6:7] op_sel:[0,1] op_sel_hi:[1,0]
	v_mov_b32_e32 v6, v20
	v_mov_b32_e32 v7, v5
	;; [unrolled: 1-line block ×3, first 2 shown]
	ds_write2_b64 v94, v[14:15], v[6:7] offset1:11
	ds_write_b64 v94, v[4:5] offset:176
	v_pk_add_f32 v[4:5], v[76:77], v[12:13]
	v_pk_add_f32 v[6:7], v[76:77], v[12:13] neg_lo:[0,1] neg_hi:[0,1]
	v_pk_fma_f32 v[4:5], v[4:5], 0.5, v[10:11] op_sel_hi:[1,0,1] neg_lo:[1,0,0] neg_hi:[1,0,0]
	v_pk_mul_f32 v[6:7], v[6:7], s[4:5] op_sel_hi:[1,0]
	v_mul_u32_u24_sdwa v12, v52, s12 dst_sel:DWORD dst_unused:UNUSED_PAD src0_sel:WORD_0 src1_sel:DWORD
	v_pk_add_f32 v[10:11], v[4:5], v[6:7] op_sel:[0,1] op_sel_hi:[1,0] neg_lo:[0,1] neg_hi:[0,1]
	v_pk_add_f32 v[4:5], v[4:5], v[6:7] op_sel:[0,1] op_sel_hi:[1,0]
	v_mov_b32_e32 v6, v10
	v_mov_b32_e32 v7, v5
	v_mov_b32_e32 v5, v11
	ds_write2_b64 v89, v[8:9], v[6:7] offset1:11
	ds_write_b64 v89, v[4:5] offset:176
	v_pk_add_f32 v[4:5], v[78:79], v[16:17]
	v_pk_add_f32 v[6:7], v[78:79], v[16:17] neg_lo:[0,1] neg_hi:[0,1]
	v_pk_fma_f32 v[4:5], v[4:5], 0.5, v[28:29] op_sel_hi:[1,0,1] neg_lo:[1,0,0] neg_hi:[1,0,0]
	v_pk_mul_f32 v[6:7], v[6:7], s[4:5] op_sel_hi:[1,0]
	v_lshrrev_b32_e32 v38, 21, v12
	v_pk_add_f32 v[8:9], v[4:5], v[6:7] op_sel:[0,1] op_sel_hi:[1,0] neg_lo:[0,1] neg_hi:[0,1]
	v_pk_add_f32 v[4:5], v[4:5], v[6:7] op_sel:[0,1] op_sel_hi:[1,0]
	v_mov_b32_e32 v6, v8
	v_mov_b32_e32 v7, v5
	;; [unrolled: 1-line block ×3, first 2 shown]
	ds_write2_b64 v63, v[18:19], v[6:7] offset1:11
	ds_write_b64 v63, v[4:5] offset:176
	v_pk_add_f32 v[4:5], v[70:71], v[24:25]
	v_pk_add_f32 v[6:7], v[70:71], v[24:25] neg_lo:[0,1] neg_hi:[0,1]
	v_pk_fma_f32 v[4:5], v[4:5], 0.5, v[30:31] op_sel_hi:[1,0,1] neg_lo:[1,0,0] neg_hi:[1,0,0]
	v_pk_mul_f32 v[6:7], v[6:7], s[4:5] op_sel_hi:[1,0]
	v_mul_lo_u16_e32 v12, 33, v38
	v_pk_add_f32 v[8:9], v[4:5], v[6:7] op_sel:[0,1] op_sel_hi:[1,0] neg_lo:[0,1] neg_hi:[0,1]
	v_pk_add_f32 v[4:5], v[4:5], v[6:7] op_sel:[0,1] op_sel_hi:[1,0]
	v_mov_b32_e32 v6, v8
	v_mov_b32_e32 v7, v5
	;; [unrolled: 1-line block ×3, first 2 shown]
	ds_write_b64 v92, v[4:5] offset:176
	v_pk_add_f32 v[4:5], v[64:65], v[26:27]
	ds_write2_b64 v92, v[74:75], v[6:7] offset1:11
	v_pk_fma_f32 v[0:1], v[4:5], 0.5, v[0:1] op_sel_hi:[1,0,1] neg_lo:[1,0,0] neg_hi:[1,0,0]
	v_pk_add_f32 v[4:5], v[64:65], v[26:27] neg_lo:[0,1] neg_hi:[0,1]
	v_mul_u32_u24_sdwa v8, v58, s12 dst_sel:DWORD dst_unused:UNUSED_PAD src0_sel:WORD_0 src1_sel:DWORD
	v_pk_mul_f32 v[4:5], v[4:5], s[4:5] op_sel_hi:[1,0]
	v_lshrrev_b32_e32 v36, 21, v8
	v_pk_add_f32 v[6:7], v[0:1], v[4:5] op_sel:[0,1] op_sel_hi:[1,0] neg_lo:[0,1] neg_hi:[0,1]
	v_pk_add_f32 v[0:1], v[0:1], v[4:5] op_sel:[0,1] op_sel_hi:[1,0]
	v_mov_b32_e32 v4, v6
	v_mov_b32_e32 v5, v1
	;; [unrolled: 1-line block ×3, first 2 shown]
	ds_write_b64 v93, v[0:1] offset:176
	v_mul_u32_u24_sdwa v0, v56, s12 dst_sel:DWORD dst_unused:UNUSED_PAD src0_sel:WORD_0 src1_sel:DWORD
	v_lshrrev_b32_e32 v0, 21, v0
	v_mul_lo_u16_e32 v1, 33, v0
	v_sub_u16_e32 v1, v56, v1
	ds_write2_b64 v93, v[60:61], v[4:5] offset1:11
	v_lshlrev_b32_e32 v4, 4, v1
	s_waitcnt lgkmcnt(0)
	s_barrier
	global_load_dwordx4 v[4:7], v4, s[8:9] offset:176
	v_mul_lo_u16_e32 v8, 33, v36
	v_sub_u16_e32 v37, v58, v8
	v_lshlrev_b32_e32 v8, 4, v37
	global_load_dwordx4 v[8:11], v8, s[8:9] offset:176
	v_sub_u16_e32 v39, v52, v12
	v_lshlrev_b32_e32 v12, 4, v39
	global_load_dwordx4 v[12:15], v12, s[8:9] offset:176
	v_mul_u32_u24_sdwa v16, v54, s12 dst_sel:DWORD dst_unused:UNUSED_PAD src0_sel:WORD_0 src1_sel:DWORD
	v_lshrrev_b32_e32 v40, 21, v16
	v_mul_lo_u16_e32 v16, 33, v40
	s_movk_i32 s12, 0xf9
	v_sub_u16_e32 v41, v54, v16
	v_mul_lo_u16_sdwa v28, v46, s12 dst_sel:DWORD dst_unused:UNUSED_PAD src0_sel:BYTE_0 src1_sel:DWORD
	v_lshlrev_b32_e32 v16, 4, v41
	global_load_dwordx4 v[16:19], v16, s[8:9] offset:176
	v_lshrrev_b16_e32 v32, 13, v28
	v_mul_lo_u16_sdwa v28, v3, s12 dst_sel:DWORD dst_unused:UNUSED_PAD src0_sel:BYTE_0 src1_sel:DWORD
	v_lshrrev_b16_e32 v34, 13, v28
	v_mul_lo_u16_e32 v28, 33, v34
	v_sub_u16_e32 v35, v3, v28
	v_mul_lo_u16_e32 v33, 33, v32
	v_lshlrev_b32_sdwa v28, v67, v35 dst_sel:DWORD dst_unused:UNUSED_PAD src0_sel:DWORD src1_sel:BYTE_0
	ds_read2_b64 v[20:23], v62 offset0:82 offset1:181
	ds_read2_b64 v[24:27], v2 offset0:36 offset1:135
	global_load_dwordx4 v[28:31], v28, s[8:9] offset:176
	v_sub_u16_e32 v33, v46, v33
	v_lshlrev_b32_sdwa v42, v67, v33 dst_sel:DWORD dst_unused:UNUSED_PAD src0_sel:DWORD src1_sel:BYTE_0
	v_mul_u32_u24_e32 v32, 0x318, v32
	v_lshlrev_b32_sdwa v33, v69, v33 dst_sel:DWORD dst_unused:UNUSED_PAD src0_sel:DWORD src1_sel:BYTE_0
	v_add3_u32 v63, 0, v32, v33
	v_mul_u32_u24_e32 v32, 0x318, v34
	v_lshlrev_b32_sdwa v33, v69, v35 dst_sel:DWORD dst_unused:UNUSED_PAD src0_sel:DWORD src1_sel:BYTE_0
	v_add3_u32 v67, 0, v32, v33
	global_load_dwordx4 v[32:35], v42, s[8:9] offset:176
	s_movk_i32 s12, 0x318
	v_perm_b32 v38, v38, v40, s10
	v_perm_b32 v0, v0, v36, s10
	v_pk_mul_lo_u16 v38, v38, s12 op_sel_hi:[1,0]
	v_pk_mul_lo_u16 v0, v0, s12 op_sel_hi:[1,0]
	v_and_b32_e32 v40, 0xfff8, v38
	v_lshrrev_b32_e32 v38, 16, v38
	v_lshlrev_b32_e32 v39, 3, v39
	v_and_b32_e32 v36, 0xfff8, v0
	v_lshlrev_b32_e32 v37, 3, v37
	v_add3_u32 v73, 0, v38, v39
	v_add3_u32 v89, 0, v36, v37
	ds_read2_b64 v[36:39], v72 offset0:94 offset1:193
	v_lshlrev_b32_e32 v41, 3, v41
	v_add3_u32 v69, 0, v40, v41
	v_lshrrev_b32_e32 v0, 16, v0
	v_lshlrev_b32_e32 v1, 3, v1
	ds_read2_b64 v[40:43], v86 offset0:48 offset1:147
	v_add3_u32 v92, 0, v0, v1
	s_mov_b32 s10, 0xa57f
	s_waitcnt vmcnt(5) lgkmcnt(1)
	v_pk_mul_f32 v[0:1], v[38:39], v[4:5] op_sel:[0,1]
	s_nop 0
	v_pk_fma_f32 v[60:61], v[38:39], v[4:5], v[0:1] op_sel:[0,0,1] op_sel_hi:[1,1,0]
	v_pk_fma_f32 v[0:1], v[38:39], v[4:5], v[0:1] op_sel:[0,0,1] op_sel_hi:[1,0,0] neg_lo:[0,0,1] neg_hi:[0,0,1]
	ds_read_b64 v[38:39], v84
	v_mov_b32_e32 v0, v7
	v_mov_b32_e32 v61, v1
	s_waitcnt lgkmcnt(1)
	v_pk_mul_f32 v[0:1], v[42:43], v[0:1] op_sel_hi:[1,0]
	s_nop 0
	v_pk_fma_f32 v[64:65], v[42:43], v[6:7], v[0:1] op_sel:[0,0,1] op_sel_hi:[1,1,0]
	v_pk_fma_f32 v[0:1], v[42:43], v[6:7], v[0:1] op_sel:[0,0,1] op_sel_hi:[1,0,0] neg_lo:[0,0,1] neg_hi:[0,0,1]
	s_nop 0
	v_mov_b32_e32 v65, v1
	ds_read_b64 v[0:1], v83
	s_waitcnt lgkmcnt(1)
	v_pk_add_f32 v[4:5], v[38:39], v[60:61]
	s_nop 0
	v_pk_add_f32 v[42:43], v[4:5], v[64:65]
	s_waitcnt vmcnt(4)
	v_pk_mul_f32 v[4:5], v[36:37], v[8:9] op_sel:[0,1]
	s_nop 0
	v_pk_fma_f32 v[70:71], v[36:37], v[8:9], v[4:5] op_sel:[0,0,1] op_sel_hi:[1,1,0]
	v_pk_fma_f32 v[4:5], v[36:37], v[8:9], v[4:5] op_sel:[0,0,1] op_sel_hi:[1,0,0] neg_lo:[0,0,1] neg_hi:[0,0,1]
	s_nop 0
	v_mov_b32_e32 v4, v11
	v_mov_b32_e32 v71, v5
	v_pk_mul_f32 v[4:5], v[40:41], v[4:5] op_sel_hi:[1,0]
	s_waitcnt lgkmcnt(0)
	v_pk_add_f32 v[8:9], v[0:1], v[70:71]
	v_pk_fma_f32 v[36:37], v[40:41], v[10:11], v[4:5] op_sel:[0,0,1] op_sel_hi:[1,1,0]
	v_pk_fma_f32 v[4:5], v[40:41], v[10:11], v[4:5] op_sel:[0,0,1] op_sel_hi:[1,0,0] neg_lo:[0,0,1] neg_hi:[0,0,1]
	s_nop 0
	v_mov_b32_e32 v37, v5
	ds_read2_b64 v[4:7], v68 offset0:24 offset1:123
	ds_read_b64 v[40:41], v81
	v_pk_add_f32 v[74:75], v[8:9], v[36:37]
	ds_read2_b64 v[8:11], v66 offset0:106 offset1:205
	s_waitcnt vmcnt(3) lgkmcnt(2)
	v_pk_mul_f32 v[76:77], v[6:7], v[12:13] op_sel:[0,1]
	s_nop 0
	v_pk_fma_f32 v[78:79], v[6:7], v[12:13], v[76:77] op_sel:[0,0,1] op_sel_hi:[1,1,0]
	v_pk_fma_f32 v[6:7], v[6:7], v[12:13], v[76:77] op_sel:[0,0,1] op_sel_hi:[1,0,0] neg_lo:[0,0,1] neg_hi:[0,0,1]
	s_nop 0
	v_mov_b32_e32 v6, v15
	v_mov_b32_e32 v79, v7
	s_waitcnt lgkmcnt(0)
	v_pk_mul_f32 v[6:7], v[10:11], v[6:7] op_sel_hi:[1,0]
	s_nop 0
	v_pk_fma_f32 v[12:13], v[10:11], v[14:15], v[6:7] op_sel:[0,0,1] op_sel_hi:[1,1,0]
	v_pk_fma_f32 v[6:7], v[10:11], v[14:15], v[6:7] op_sel:[0,0,1] op_sel_hi:[1,0,0] neg_lo:[0,0,1] neg_hi:[0,0,1]
	ds_read_b64 v[10:11], v82
	v_mov_b32_e32 v13, v7
	v_pk_add_f32 v[6:7], v[40:41], v[78:79]
	s_nop 0
	v_pk_add_f32 v[14:15], v[6:7], v[12:13]
	s_waitcnt vmcnt(2)
	v_pk_mul_f32 v[6:7], v[4:5], v[16:17] op_sel:[0,1]
	s_nop 0
	v_pk_fma_f32 v[76:77], v[4:5], v[16:17], v[6:7] op_sel:[0,0,1] op_sel_hi:[1,1,0]
	v_pk_fma_f32 v[4:5], v[4:5], v[16:17], v[6:7] op_sel:[0,0,1] op_sel_hi:[1,0,0] neg_lo:[0,0,1] neg_hi:[0,0,1]
	s_nop 0
	v_mov_b32_e32 v4, v19
	v_mov_b32_e32 v77, v5
	v_pk_mul_f32 v[4:5], v[8:9], v[4:5] op_sel_hi:[1,0]
	s_nop 0
	v_pk_fma_f32 v[16:17], v[8:9], v[18:19], v[4:5] op_sel:[0,0,1] op_sel_hi:[1,1,0]
	v_pk_fma_f32 v[4:5], v[8:9], v[18:19], v[4:5] op_sel:[0,0,1] op_sel_hi:[1,0,0] neg_lo:[0,0,1] neg_hi:[0,0,1]
	s_waitcnt vmcnt(1)
	v_pk_mul_f32 v[18:19], v[28:29], v[22:23] op_sel:[0,1]
	v_mov_b32_e32 v17, v5
	v_pk_fma_f32 v[90:91], v[28:29], v[22:23], v[18:19] op_sel:[0,0,1] op_sel_hi:[1,1,0]
	v_pk_fma_f32 v[18:19], v[28:29], v[22:23], v[18:19] op_sel:[0,0,1] op_sel_hi:[1,0,0] neg_lo:[1,0,0] neg_hi:[1,0,0]
	s_waitcnt lgkmcnt(0)
	v_pk_add_f32 v[4:5], v[10:11], v[76:77]
	v_mov_b32_e32 v91, v19
	v_pk_mul_f32 v[18:19], v[30:31], v[26:27] op_sel:[0,1]
	v_pk_add_f32 v[8:9], v[4:5], v[16:17]
	v_pk_fma_f32 v[22:23], v[30:31], v[26:27], v[18:19] op_sel:[0,0,1] op_sel_hi:[1,1,0]
	v_pk_fma_f32 v[18:19], v[30:31], v[26:27], v[18:19] op_sel:[0,0,1] op_sel_hi:[1,0,0] neg_lo:[1,0,0] neg_hi:[1,0,0]
	s_waitcnt vmcnt(0)
	v_pk_mul_f32 v[26:27], v[32:33], v[20:21] op_sel:[0,1]
	ds_read2_b64 v[4:7], v80 offset1:99
	v_pk_fma_f32 v[28:29], v[32:33], v[20:21], v[26:27] op_sel:[0,0,1] op_sel_hi:[1,1,0]
	v_pk_fma_f32 v[20:21], v[32:33], v[20:21], v[26:27] op_sel:[0,0,1] op_sel_hi:[1,0,0] neg_lo:[1,0,0] neg_hi:[1,0,0]
	v_mov_b32_e32 v23, v19
	v_mov_b32_e32 v29, v21
	v_pk_mul_f32 v[20:21], v[34:35], v[24:25] op_sel:[0,1]
	s_waitcnt lgkmcnt(0)
	v_pk_fma_f32 v[26:27], v[34:35], v[24:25], v[20:21] op_sel:[0,0,1] op_sel_hi:[1,1,0]
	v_pk_fma_f32 v[20:21], v[34:35], v[24:25], v[20:21] op_sel:[0,0,1] op_sel_hi:[1,0,0] neg_lo:[1,0,0] neg_hi:[1,0,0]
	s_barrier
	v_mov_b32_e32 v27, v21
	v_pk_add_f32 v[24:25], v[28:29], v[26:27]
	v_pk_add_f32 v[20:21], v[4:5], v[28:29]
	v_pk_fma_f32 v[4:5], v[24:25], 0.5, v[4:5] op_sel_hi:[1,0,1] neg_lo:[1,0,0] neg_hi:[1,0,0]
	v_pk_add_f32 v[24:25], v[28:29], v[26:27] neg_lo:[0,1] neg_hi:[0,1]
	v_pk_add_f32 v[20:21], v[20:21], v[26:27]
	v_pk_mul_f32 v[24:25], v[24:25], s[4:5] op_sel_hi:[1,0]
	s_nop 0
	v_pk_add_f32 v[26:27], v[4:5], v[24:25] op_sel:[0,1] op_sel_hi:[1,0] neg_lo:[0,1] neg_hi:[0,1]
	v_pk_add_f32 v[4:5], v[4:5], v[24:25] op_sel:[0,1] op_sel_hi:[1,0]
	v_pk_add_f32 v[18:19], v[6:7], v[90:91]
	v_mov_b32_e32 v25, v5
	v_mov_b32_e32 v5, v27
	ds_write_b64 v63, v[4:5] offset:528
	v_pk_add_f32 v[4:5], v[90:91], v[22:23]
	v_mov_b32_e32 v24, v26
	v_pk_fma_f32 v[4:5], v[4:5], 0.5, v[6:7] op_sel_hi:[1,0,1] neg_lo:[1,0,0] neg_hi:[1,0,0]
	v_pk_add_f32 v[6:7], v[90:91], v[22:23] neg_lo:[0,1] neg_hi:[0,1]
	ds_write2_b64 v63, v[20:21], v[24:25] offset1:33
	v_pk_mul_f32 v[6:7], v[6:7], s[4:5] op_sel_hi:[1,0]
	v_pk_add_f32 v[18:19], v[18:19], v[22:23]
	v_pk_add_f32 v[20:21], v[4:5], v[6:7] op_sel:[0,1] op_sel_hi:[1,0] neg_lo:[0,1] neg_hi:[0,1]
	v_pk_add_f32 v[4:5], v[4:5], v[6:7] op_sel:[0,1] op_sel_hi:[1,0]
	v_mov_b32_e32 v6, v20
	v_mov_b32_e32 v7, v5
	;; [unrolled: 1-line block ×3, first 2 shown]
	ds_write2_b64 v67, v[18:19], v[6:7] offset1:33
	ds_write_b64 v67, v[4:5] offset:528
	v_pk_add_f32 v[4:5], v[76:77], v[16:17]
	v_pk_add_f32 v[6:7], v[76:77], v[16:17] neg_lo:[0,1] neg_hi:[0,1]
	v_pk_fma_f32 v[4:5], v[4:5], 0.5, v[10:11] op_sel_hi:[1,0,1] neg_lo:[1,0,0] neg_hi:[1,0,0]
	v_pk_mul_f32 v[6:7], v[6:7], s[4:5] op_sel_hi:[1,0]
	v_mul_u32_u24_sdwa v16, v52, s10 dst_sel:DWORD dst_unused:UNUSED_PAD src0_sel:WORD_0 src1_sel:DWORD
	v_pk_add_f32 v[10:11], v[4:5], v[6:7] op_sel:[0,1] op_sel_hi:[1,0] neg_lo:[0,1] neg_hi:[0,1]
	v_pk_add_f32 v[4:5], v[4:5], v[6:7] op_sel:[0,1] op_sel_hi:[1,0]
	v_mov_b32_e32 v6, v10
	v_mov_b32_e32 v7, v5
	;; [unrolled: 1-line block ×3, first 2 shown]
	ds_write2_b64 v69, v[8:9], v[6:7] offset1:33
	ds_write_b64 v69, v[4:5] offset:528
	v_pk_add_f32 v[4:5], v[78:79], v[12:13]
	v_pk_add_f32 v[6:7], v[78:79], v[12:13] neg_lo:[0,1] neg_hi:[0,1]
	v_pk_fma_f32 v[4:5], v[4:5], 0.5, v[40:41] op_sel_hi:[1,0,1] neg_lo:[1,0,0] neg_hi:[1,0,0]
	v_pk_mul_f32 v[6:7], v[6:7], s[4:5] op_sel_hi:[1,0]
	v_mul_u32_u24_sdwa v12, v58, s10 dst_sel:DWORD dst_unused:UNUSED_PAD src0_sel:WORD_0 src1_sel:DWORD
	v_pk_add_f32 v[8:9], v[4:5], v[6:7] op_sel:[0,1] op_sel_hi:[1,0] neg_lo:[0,1] neg_hi:[0,1]
	v_pk_add_f32 v[4:5], v[4:5], v[6:7] op_sel:[0,1] op_sel_hi:[1,0]
	v_mov_b32_e32 v6, v8
	v_mov_b32_e32 v7, v5
	;; [unrolled: 1-line block ×3, first 2 shown]
	ds_write_b64 v73, v[4:5] offset:528
	v_pk_add_f32 v[4:5], v[70:71], v[36:37]
	ds_write2_b64 v73, v[14:15], v[6:7] offset1:33
	v_pk_fma_f32 v[0:1], v[4:5], 0.5, v[0:1] op_sel_hi:[1,0,1] neg_lo:[1,0,0] neg_hi:[1,0,0]
	v_pk_add_f32 v[4:5], v[70:71], v[36:37] neg_lo:[0,1] neg_hi:[0,1]
	v_mul_u32_u24_sdwa v8, v56, s10 dst_sel:DWORD dst_unused:UNUSED_PAD src0_sel:WORD_0 src1_sel:DWORD
	v_pk_mul_f32 v[4:5], v[4:5], s[4:5] op_sel_hi:[1,0]
	v_lshrrev_b32_e32 v8, 22, v8
	v_pk_add_f32 v[6:7], v[0:1], v[4:5] op_sel:[0,1] op_sel_hi:[1,0] neg_lo:[0,1] neg_hi:[0,1]
	v_pk_add_f32 v[0:1], v[0:1], v[4:5] op_sel:[0,1] op_sel_hi:[1,0]
	v_mov_b32_e32 v4, v6
	v_mov_b32_e32 v5, v1
	;; [unrolled: 1-line block ×3, first 2 shown]
	ds_write2_b64 v89, v[74:75], v[4:5] offset1:33
	ds_write_b64 v89, v[0:1] offset:528
	v_pk_add_f32 v[0:1], v[60:61], v[64:65]
	v_pk_add_f32 v[4:5], v[60:61], v[64:65] neg_lo:[0,1] neg_hi:[0,1]
	v_pk_fma_f32 v[0:1], v[0:1], 0.5, v[38:39] op_sel_hi:[1,0,1] neg_lo:[1,0,0] neg_hi:[1,0,0]
	v_pk_mul_f32 v[4:5], v[4:5], s[4:5] op_sel_hi:[1,0]
	v_mul_lo_u16_e32 v8, 0x63, v8
	v_pk_add_f32 v[6:7], v[0:1], v[4:5] op_sel:[0,1] op_sel_hi:[1,0] neg_lo:[0,1] neg_hi:[0,1]
	v_pk_add_f32 v[0:1], v[0:1], v[4:5] op_sel:[0,1] op_sel_hi:[1,0]
	v_mov_b32_e32 v4, v6
	v_mov_b32_e32 v5, v1
	;; [unrolled: 1-line block ×3, first 2 shown]
	ds_write_b64 v92, v[0:1] offset:528
	v_lshlrev_b32_e32 v0, 1, v46
	v_mov_b32_e32 v1, v47
	v_lshl_add_u64 v[0:1], v[0:1], 3, s[8:9]
	ds_write2_b64 v92, v[42:43], v[4:5] offset1:33
	s_waitcnt lgkmcnt(0)
	s_barrier
	global_load_dwordx4 v[4:7], v[0:1], off offset:704
	v_sub_u16_e32 v40, v56, v8
	v_lshlrev_b32_e32 v8, 4, v40
	global_load_dwordx4 v[8:11], v8, s[8:9] offset:704
	v_lshrrev_b32_e32 v12, 22, v12
	v_mul_lo_u16_e32 v12, 0x63, v12
	v_sub_u16_e32 v41, v58, v12
	v_lshlrev_b32_e32 v12, 4, v41
	global_load_dwordx4 v[12:15], v12, s[8:9] offset:704
	v_lshrrev_b32_e32 v16, 22, v16
	v_mul_lo_u16_e32 v16, 0x63, v16
	v_sub_u16_e32 v42, v52, v16
	v_lshlrev_b32_e32 v16, 4, v42
	v_mul_u32_u24_sdwa v24, v54, s10 dst_sel:DWORD dst_unused:UNUSED_PAD src0_sel:WORD_0 src1_sel:DWORD
	global_load_dwordx4 v[16:19], v16, s[8:9] offset:704
	v_lshrrev_b32_e32 v24, 22, v24
	v_mul_lo_u16_e32 v24, 0x63, v24
	v_sub_u16_e32 v43, v54, v24
	v_lshlrev_b32_e32 v24, 4, v43
	global_load_dwordx4 v[24:27], v24, s[8:9] offset:704
	ds_read2_b64 v[20:23], v62 offset0:82 offset1:181
	ds_read2_b64 v[28:31], v2 offset0:36 offset1:135
	ds_read2_b64 v[32:35], v80 offset1:99
	v_lshl_add_u32 v69, v41, 3, 0
	v_lshl_add_u32 v73, v40, 3, 0
	;; [unrolled: 1-line block ×4, first 2 shown]
	s_waitcnt vmcnt(4) lgkmcnt(2)
	v_pk_mul_f32 v[36:37], v[4:5], v[20:21] op_sel:[0,1]
	s_nop 0
	v_pk_fma_f32 v[38:39], v[4:5], v[20:21], v[36:37] op_sel:[0,0,1] op_sel_hi:[1,1,0]
	v_pk_fma_f32 v[20:21], v[4:5], v[20:21], v[36:37] op_sel:[0,0,1] op_sel_hi:[1,0,0] neg_lo:[1,0,0] neg_hi:[1,0,0]
	s_nop 0
	v_mov_b32_e32 v39, v21
	s_waitcnt lgkmcnt(1)
	v_pk_mul_f32 v[20:21], v[6:7], v[28:29] op_sel:[0,1]
	s_nop 0
	v_pk_fma_f32 v[36:37], v[6:7], v[28:29], v[20:21] op_sel:[0,0,1] op_sel_hi:[1,1,0]
	v_pk_fma_f32 v[20:21], v[6:7], v[28:29], v[20:21] op_sel:[0,0,1] op_sel_hi:[1,0,0] neg_lo:[1,0,0] neg_hi:[1,0,0]
	s_nop 0
	v_mov_b32_e32 v37, v21
	s_waitcnt lgkmcnt(0)
	v_pk_add_f32 v[20:21], v[32:33], v[38:39]
	s_nop 0
	v_pk_add_f32 v[28:29], v[20:21], v[36:37]
	v_pk_add_f32 v[20:21], v[38:39], v[36:37]
	s_nop 0
	v_pk_fma_f32 v[20:21], v[20:21], 0.5, v[32:33] op_sel_hi:[1,0,1] neg_lo:[1,0,0] neg_hi:[1,0,0]
	v_pk_add_f32 v[32:33], v[38:39], v[36:37] neg_lo:[0,1] neg_hi:[0,1]
	s_nop 0
	v_pk_mul_f32 v[32:33], v[32:33], s[4:5] op_sel_hi:[1,0]
	s_nop 0
	v_pk_add_f32 v[36:37], v[20:21], v[32:33] op_sel:[0,1] op_sel_hi:[1,0] neg_lo:[0,1] neg_hi:[0,1]
	v_pk_add_f32 v[32:33], v[20:21], v[32:33] op_sel:[0,1] op_sel_hi:[1,0]
	v_pk_mul_f32 v[20:21], v[4:5], v[22:23] op_sel:[0,1]
	s_nop 0
	v_pk_fma_f32 v[38:39], v[4:5], v[22:23], v[20:21] op_sel:[0,0,1] op_sel_hi:[1,1,0]
	v_pk_fma_f32 v[4:5], v[4:5], v[22:23], v[20:21] op_sel:[0,0,1] op_sel_hi:[1,0,0] neg_lo:[1,0,0] neg_hi:[1,0,0]
	s_nop 0
	v_mov_b32_e32 v39, v5
	v_pk_mul_f32 v[4:5], v[6:7], v[30:31] op_sel:[0,1]
	s_nop 0
	v_pk_fma_f32 v[20:21], v[6:7], v[30:31], v[4:5] op_sel:[0,0,1] op_sel_hi:[1,1,0]
	v_pk_fma_f32 v[4:5], v[6:7], v[30:31], v[4:5] op_sel:[0,0,1] op_sel_hi:[1,0,0] neg_lo:[1,0,0] neg_hi:[1,0,0]
	s_nop 0
	v_mov_b32_e32 v21, v5
	v_pk_add_f32 v[4:5], v[34:35], v[38:39]
	v_pk_add_f32 v[6:7], v[38:39], v[20:21] neg_lo:[0,1] neg_hi:[0,1]
	v_pk_add_f32 v[30:31], v[4:5], v[20:21]
	v_pk_add_f32 v[4:5], v[38:39], v[20:21]
	v_pk_mul_f32 v[6:7], v[6:7], s[4:5] op_sel_hi:[1,0]
	v_pk_fma_f32 v[4:5], v[4:5], 0.5, v[34:35] op_sel_hi:[1,0,1] neg_lo:[1,0,0] neg_hi:[1,0,0]
	ds_read2_b64 v[20:23], v86 offset0:48 offset1:147
	v_pk_add_f32 v[34:35], v[4:5], v[6:7] op_sel:[0,1] op_sel_hi:[1,0] neg_lo:[0,1] neg_hi:[0,1]
	v_pk_add_f32 v[38:39], v[4:5], v[6:7] op_sel:[0,1] op_sel_hi:[1,0]
	ds_read2_b64 v[4:7], v72 offset0:94 offset1:193
	s_waitcnt vmcnt(3) lgkmcnt(0)
	v_pk_mul_f32 v[40:41], v[6:7], v[8:9] op_sel:[0,1]
	s_nop 0
	v_pk_fma_f32 v[42:43], v[6:7], v[8:9], v[40:41] op_sel:[0,0,1] op_sel_hi:[1,1,0]
	v_pk_fma_f32 v[6:7], v[6:7], v[8:9], v[40:41] op_sel:[0,0,1] op_sel_hi:[1,0,0] neg_lo:[0,0,1] neg_hi:[0,0,1]
	ds_read_b64 v[40:41], v84
	v_mov_b32_e32 v6, v11
	v_mov_b32_e32 v43, v7
	v_pk_mul_f32 v[6:7], v[22:23], v[6:7] op_sel_hi:[1,0]
	s_nop 0
	v_pk_fma_f32 v[60:61], v[22:23], v[10:11], v[6:7] op_sel:[0,0,1] op_sel_hi:[1,1,0]
	v_pk_fma_f32 v[6:7], v[22:23], v[10:11], v[6:7] op_sel:[0,0,1] op_sel_hi:[1,0,0] neg_lo:[0,0,1] neg_hi:[0,0,1]
	ds_read_b64 v[22:23], v83
	v_mov_b32_e32 v61, v7
	s_waitcnt lgkmcnt(1)
	v_pk_add_f32 v[6:7], v[40:41], v[42:43]
	s_nop 0
	v_pk_add_f32 v[64:65], v[6:7], v[60:61]
	s_waitcnt vmcnt(2)
	v_pk_mul_f32 v[6:7], v[4:5], v[12:13] op_sel:[0,1]
	s_nop 0
	v_pk_fma_f32 v[70:71], v[4:5], v[12:13], v[6:7] op_sel:[0,0,1] op_sel_hi:[1,1,0]
	v_pk_fma_f32 v[4:5], v[4:5], v[12:13], v[6:7] op_sel:[0,0,1] op_sel_hi:[1,0,0] neg_lo:[0,0,1] neg_hi:[0,0,1]
	s_nop 0
	v_mov_b32_e32 v4, v15
	v_mov_b32_e32 v71, v5
	v_pk_mul_f32 v[4:5], v[20:21], v[4:5] op_sel_hi:[1,0]
	s_waitcnt lgkmcnt(0)
	v_pk_add_f32 v[8:9], v[22:23], v[70:71]
	v_pk_fma_f32 v[12:13], v[20:21], v[14:15], v[4:5] op_sel:[0,0,1] op_sel_hi:[1,1,0]
	v_pk_fma_f32 v[4:5], v[20:21], v[14:15], v[4:5] op_sel:[0,0,1] op_sel_hi:[1,0,0] neg_lo:[0,0,1] neg_hi:[0,0,1]
	s_nop 0
	v_mov_b32_e32 v13, v5
	ds_read2_b64 v[4:7], v68 offset0:24 offset1:123
	ds_read_b64 v[14:15], v81
	v_pk_add_f32 v[20:21], v[8:9], v[12:13]
	ds_read2_b64 v[8:11], v66 offset0:106 offset1:205
	s_waitcnt vmcnt(1) lgkmcnt(2)
	v_pk_mul_f32 v[74:75], v[6:7], v[16:17] op_sel:[0,1]
	s_nop 0
	v_pk_fma_f32 v[76:77], v[6:7], v[16:17], v[74:75] op_sel:[0,0,1] op_sel_hi:[1,1,0]
	v_pk_fma_f32 v[6:7], v[6:7], v[16:17], v[74:75] op_sel:[0,0,1] op_sel_hi:[1,0,0] neg_lo:[0,0,1] neg_hi:[0,0,1]
	s_nop 0
	v_mov_b32_e32 v6, v19
	v_mov_b32_e32 v77, v7
	s_waitcnt lgkmcnt(0)
	v_pk_mul_f32 v[6:7], v[10:11], v[6:7] op_sel_hi:[1,0]
	s_nop 0
	v_pk_fma_f32 v[16:17], v[10:11], v[18:19], v[6:7] op_sel:[0,0,1] op_sel_hi:[1,1,0]
	v_pk_fma_f32 v[6:7], v[10:11], v[18:19], v[6:7] op_sel:[0,0,1] op_sel_hi:[1,0,0] neg_lo:[0,0,1] neg_hi:[0,0,1]
	s_waitcnt vmcnt(0)
	v_pk_mul_f32 v[18:19], v[4:5], v[24:25] op_sel:[0,1]
	v_mov_b32_e32 v17, v7
	v_pk_fma_f32 v[74:75], v[4:5], v[24:25], v[18:19] op_sel:[0,0,1] op_sel_hi:[1,1,0]
	v_pk_fma_f32 v[4:5], v[4:5], v[24:25], v[18:19] op_sel:[0,0,1] op_sel_hi:[1,0,0] neg_lo:[0,0,1] neg_hi:[0,0,1]
	ds_read_b64 v[6:7], v82
	v_mov_b32_e32 v4, v27
	v_mov_b32_e32 v75, v5
	v_pk_mul_f32 v[4:5], v[8:9], v[4:5] op_sel_hi:[1,0]
	s_waitcnt lgkmcnt(0)
	v_pk_fma_f32 v[18:19], v[8:9], v[26:27], v[4:5] op_sel:[0,0,1] op_sel_hi:[1,1,0]
	v_pk_fma_f32 v[4:5], v[8:9], v[26:27], v[4:5] op_sel:[0,0,1] op_sel_hi:[1,0,0] neg_lo:[0,0,1] neg_hi:[0,0,1]
	v_mov_b32_e32 v8, v36
	v_mov_b32_e32 v9, v33
	;; [unrolled: 1-line block ×3, first 2 shown]
	s_barrier
	ds_write2_b64 v80, v[28:29], v[8:9] offset1:99
	v_mov_b32_e32 v8, v34
	v_mov_b32_e32 v9, v39
	;; [unrolled: 1-line block ×3, first 2 shown]
	ds_write2_b64 v87, v[8:9], v[38:39] offset0:140 offset1:239
	v_pk_add_f32 v[8:9], v[74:75], v[18:19]
	v_pk_add_f32 v[4:5], v[6:7], v[74:75]
	v_pk_fma_f32 v[6:7], v[8:9], 0.5, v[6:7] op_sel_hi:[1,0,1] neg_lo:[1,0,0] neg_hi:[1,0,0]
	v_pk_add_f32 v[8:9], v[74:75], v[18:19] neg_lo:[0,1] neg_hi:[0,1]
	v_pk_add_f32 v[4:5], v[4:5], v[18:19]
	v_pk_mul_f32 v[8:9], v[8:9], s[4:5] op_sel_hi:[1,0]
	v_mov_b32_e32 v33, v37
	v_pk_add_f32 v[18:19], v[6:7], v[8:9] op_sel:[0,1] op_sel_hi:[1,0] neg_lo:[0,1] neg_hi:[0,1]
	v_pk_add_f32 v[6:7], v[6:7], v[8:9] op_sel:[0,1] op_sel_hi:[1,0]
	v_mov_b32_e32 v8, v18
	v_mov_b32_e32 v9, v7
	v_add_u32_e32 v7, 0x1000, v63
	ds_write2_b64 v88, v[32:33], v[30:31] offset0:70 offset1:169
	ds_write2_b64 v7, v[4:5], v[8:9] offset0:82 offset1:181
	v_mov_b32_e32 v7, v19
	ds_write_b64 v63, v[6:7] offset:6336
	v_pk_add_f32 v[4:5], v[76:77], v[16:17]
	v_pk_add_f32 v[6:7], v[76:77], v[16:17] neg_lo:[0,1] neg_hi:[0,1]
	v_pk_fma_f32 v[4:5], v[4:5], 0.5, v[14:15] op_sel_hi:[1,0,1] neg_lo:[1,0,0] neg_hi:[1,0,0]
	v_pk_mul_f32 v[6:7], v[6:7], s[4:5] op_sel_hi:[1,0]
	v_pk_add_f32 v[10:11], v[14:15], v[76:77]
	v_pk_add_f32 v[8:9], v[4:5], v[6:7] op_sel:[0,1] op_sel_hi:[1,0] neg_lo:[0,1] neg_hi:[0,1]
	v_pk_add_f32 v[4:5], v[4:5], v[6:7] op_sel:[0,1] op_sel_hi:[1,0]
	v_pk_add_f32 v[10:11], v[10:11], v[16:17]
	v_mov_b32_e32 v6, v8
	v_mov_b32_e32 v7, v5
	v_add_u32_e32 v5, 0x1800, v67
	ds_write2_b64 v5, v[10:11], v[6:7] offset0:123 offset1:222
	v_mov_b32_e32 v5, v9
	ds_write_b64 v67, v[4:5] offset:8712
	v_pk_add_f32 v[4:5], v[70:71], v[12:13]
	v_pk_add_f32 v[6:7], v[70:71], v[12:13] neg_lo:[0,1] neg_hi:[0,1]
	v_pk_fma_f32 v[4:5], v[4:5], 0.5, v[22:23] op_sel_hi:[1,0,1] neg_lo:[1,0,0] neg_hi:[1,0,0]
	v_pk_mul_f32 v[6:7], v[6:7], s[4:5] op_sel_hi:[1,0]
	s_nop 0
	v_pk_add_f32 v[8:9], v[4:5], v[6:7] op_sel:[0,1] op_sel_hi:[1,0] neg_lo:[0,1] neg_hi:[0,1]
	v_pk_add_f32 v[4:5], v[4:5], v[6:7] op_sel:[0,1] op_sel_hi:[1,0]
	v_mov_b32_e32 v6, v8
	v_mov_b32_e32 v7, v5
	v_add_u32_e32 v5, 0x2400, v69
	ds_write2_b64 v5, v[20:21], v[6:7] offset0:36 offset1:135
	v_mov_b32_e32 v5, v9
	ds_write_b64 v69, v[4:5] offset:11088
	v_pk_add_f32 v[4:5], v[42:43], v[60:61]
	v_pk_add_f32 v[6:7], v[42:43], v[60:61] neg_lo:[0,1] neg_hi:[0,1]
	v_pk_fma_f32 v[4:5], v[4:5], 0.5, v[40:41] op_sel_hi:[1,0,1] neg_lo:[1,0,0] neg_hi:[1,0,0]
	v_pk_mul_f32 v[6:7], v[6:7], s[4:5] op_sel_hi:[1,0]
	s_nop 0
	v_pk_add_f32 v[8:9], v[4:5], v[6:7] op_sel:[0,1] op_sel_hi:[1,0] neg_lo:[0,1] neg_hi:[0,1]
	v_pk_add_f32 v[4:5], v[4:5], v[6:7] op_sel:[0,1] op_sel_hi:[1,0]
	v_mov_b32_e32 v6, v8
	v_mov_b32_e32 v7, v5
	v_add_u32_e32 v5, 0x2c00, v73
	ds_write2_b64 v5, v[64:65], v[6:7] offset0:77 offset1:176
	v_mov_b32_e32 v5, v9
	ds_write_b64 v73, v[4:5] offset:13464
	s_waitcnt lgkmcnt(0)
	s_barrier
	global_load_dwordx4 v[4:7], v[0:1], off offset:2288
	v_lshlrev_b32_e32 v0, 1, v3
	v_mov_b32_e32 v1, v47
	v_lshl_add_u64 v[0:1], v[0:1], 3, s[8:9]
	global_load_dwordx4 v[8:11], v[0:1], off offset:2288
	v_lshlrev_b32_e32 v0, 1, v54
	v_mov_b32_e32 v1, v47
	v_lshl_add_u64 v[0:1], v[0:1], 3, s[8:9]
	global_load_dwordx4 v[12:15], v[0:1], off offset:2288
	ds_read2_b64 v[16:19], v62 offset0:82 offset1:181
	ds_read2_b64 v[20:23], v2 offset0:36 offset1:135
	ds_read2_b64 v[24:27], v80 offset1:99
	s_waitcnt vmcnt(2) lgkmcnt(2)
	v_pk_mul_f32 v[0:1], v[4:5], v[16:17] op_sel:[0,1]
	s_nop 0
	v_pk_fma_f32 v[28:29], v[4:5], v[16:17], v[0:1] op_sel:[0,0,1] op_sel_hi:[1,1,0]
	v_pk_fma_f32 v[0:1], v[4:5], v[16:17], v[0:1] op_sel:[0,0,1] op_sel_hi:[1,0,0] neg_lo:[1,0,0] neg_hi:[1,0,0]
	s_waitcnt vmcnt(1)
	v_pk_mul_f32 v[16:17], v[8:9], v[18:19] op_sel:[0,1]
	s_nop 0
	v_pk_fma_f32 v[32:33], v[8:9], v[18:19], v[16:17] op_sel:[0,0,1] op_sel_hi:[1,1,0]
	v_pk_fma_f32 v[16:17], v[8:9], v[18:19], v[16:17] op_sel:[0,0,1] op_sel_hi:[1,0,0] neg_lo:[1,0,0] neg_hi:[1,0,0]
	v_mov_b32_e32 v29, v1
	s_waitcnt lgkmcnt(1)
	v_pk_mul_f32 v[0:1], v[6:7], v[20:21] op_sel:[0,1]
	v_mov_b32_e32 v33, v17
	v_pk_mul_f32 v[16:17], v[10:11], v[22:23] op_sel:[0,1]
	v_pk_fma_f32 v[30:31], v[6:7], v[20:21], v[0:1] op_sel:[0,0,1] op_sel_hi:[1,1,0]
	v_pk_fma_f32 v[0:1], v[6:7], v[20:21], v[0:1] op_sel:[0,0,1] op_sel_hi:[1,0,0] neg_lo:[1,0,0] neg_hi:[1,0,0]
	v_pk_fma_f32 v[34:35], v[10:11], v[22:23], v[16:17] op_sel:[0,0,1] op_sel_hi:[1,1,0]
	v_pk_fma_f32 v[20:21], v[10:11], v[22:23], v[16:17] op_sel:[0,0,1] op_sel_hi:[1,0,0] neg_lo:[1,0,0] neg_hi:[1,0,0]
	ds_read2_b64 v[16:19], v68 offset0:24 offset1:123
	v_mov_b32_e32 v35, v21
	s_waitcnt lgkmcnt(1)
	v_pk_add_f32 v[20:21], v[26:27], v[32:33]
	v_mov_b32_e32 v31, v1
	v_pk_add_f32 v[36:37], v[20:21], v[34:35]
	ds_read2_b64 v[20:23], v66 offset0:106 offset1:205
	s_waitcnt vmcnt(0) lgkmcnt(1)
	v_pk_mul_f32 v[38:39], v[16:17], v[12:13] op_sel:[0,1]
	v_pk_add_f32 v[0:1], v[24:25], v[28:29]
	v_pk_fma_f32 v[40:41], v[16:17], v[12:13], v[38:39] op_sel:[0,0,1] op_sel_hi:[1,1,0]
	v_pk_fma_f32 v[16:17], v[16:17], v[12:13], v[38:39] op_sel:[0,0,1] op_sel_hi:[1,0,0] neg_lo:[0,0,1] neg_hi:[0,0,1]
	v_mov_b32_e32 v38, v15
	v_mov_b32_e32 v41, v17
	s_waitcnt lgkmcnt(0)
	v_pk_mul_f32 v[16:17], v[20:21], v[38:39] op_sel_hi:[1,0]
	v_pk_add_f32 v[0:1], v[0:1], v[30:31]
	v_pk_fma_f32 v[42:43], v[20:21], v[14:15], v[16:17] op_sel:[0,0,1] op_sel_hi:[1,1,0]
	v_pk_fma_f32 v[16:17], v[20:21], v[14:15], v[16:17] op_sel:[0,0,1] op_sel_hi:[1,0,0] neg_lo:[0,0,1] neg_hi:[0,0,1]
	ds_read_b64 v[20:21], v82
	v_mov_b32_e32 v43, v17
	ds_read_b64 v[60:61], v81
	ds_read_b64 v[64:65], v83
	;; [unrolled: 1-line block ×3, first 2 shown]
	s_waitcnt lgkmcnt(3)
	v_pk_add_f32 v[16:17], v[20:21], v[40:41]
	s_nop 0
	v_pk_add_f32 v[74:75], v[16:17], v[42:43]
	v_pk_add_f32 v[16:17], v[28:29], v[30:31]
	s_nop 0
	v_pk_fma_f32 v[16:17], v[16:17], 0.5, v[24:25] op_sel_hi:[1,0,1] neg_lo:[1,0,0] neg_hi:[1,0,0]
	v_pk_add_f32 v[24:25], v[28:29], v[30:31] neg_lo:[0,1] neg_hi:[0,1]
	s_nop 0
	v_pk_mul_f32 v[24:25], v[24:25], s[4:5] op_sel_hi:[1,0]
	s_nop 0
	v_pk_add_f32 v[28:29], v[16:17], v[24:25] op_sel:[0,1] op_sel_hi:[1,0] neg_lo:[0,1] neg_hi:[0,1]
	v_pk_add_f32 v[24:25], v[16:17], v[24:25] op_sel:[0,1] op_sel_hi:[1,0]
	v_pk_add_f32 v[16:17], v[32:33], v[34:35]
	s_nop 0
	v_pk_fma_f32 v[16:17], v[16:17], 0.5, v[26:27] op_sel_hi:[1,0,1] neg_lo:[1,0,0] neg_hi:[1,0,0]
	v_pk_add_f32 v[26:27], v[32:33], v[34:35] neg_lo:[0,1] neg_hi:[0,1]
	s_nop 0
	v_pk_mul_f32 v[26:27], v[26:27], s[4:5] op_sel_hi:[1,0]
	s_nop 0
	v_pk_add_f32 v[30:31], v[16:17], v[26:27] op_sel:[0,1] op_sel_hi:[1,0] neg_lo:[0,1] neg_hi:[0,1]
	v_pk_add_f32 v[26:27], v[16:17], v[26:27] op_sel:[0,1] op_sel_hi:[1,0]
	;; [unrolled: 9-line block ×3, first 2 shown]
	v_pk_mul_f32 v[16:17], v[18:19], v[4:5] op_sel:[0,1]
	s_nop 0
	v_pk_fma_f32 v[34:35], v[18:19], v[4:5], v[16:17] op_sel:[0,0,1] op_sel_hi:[1,1,0]
	v_pk_fma_f32 v[4:5], v[18:19], v[4:5], v[16:17] op_sel:[0,0,1] op_sel_hi:[1,0,0] neg_lo:[0,0,1] neg_hi:[0,0,1]
	s_nop 0
	v_mov_b32_e32 v4, v7
	v_mov_b32_e32 v35, v5
	v_pk_mul_f32 v[4:5], v[22:23], v[4:5] op_sel_hi:[1,0]
	s_nop 0
	v_pk_fma_f32 v[40:41], v[22:23], v[6:7], v[4:5] op_sel:[0,0,1] op_sel_hi:[1,1,0]
	v_pk_fma_f32 v[16:17], v[22:23], v[6:7], v[4:5] op_sel:[0,0,1] op_sel_hi:[1,0,0] neg_lo:[0,0,1] neg_hi:[0,0,1]
	ds_read2_b64 v[4:7], v72 offset0:94 offset1:193
	v_mov_b32_e32 v41, v17
	s_waitcnt lgkmcnt(3)
	v_pk_add_f32 v[16:17], v[60:61], v[34:35]
	s_waitcnt lgkmcnt(0)
	v_pk_mul_f32 v[42:43], v[4:5], v[8:9] op_sel:[0,1]
	v_pk_add_f32 v[22:23], v[16:17], v[40:41]
	ds_read2_b64 v[16:19], v86 offset0:48 offset1:147
	v_pk_fma_f32 v[76:77], v[4:5], v[8:9], v[42:43] op_sel:[0,0,1] op_sel_hi:[1,1,0]
	v_pk_fma_f32 v[4:5], v[4:5], v[8:9], v[42:43] op_sel:[0,0,1] op_sel_hi:[1,0,0] neg_lo:[0,0,1] neg_hi:[0,0,1]
	s_waitcnt lgkmcnt(0)
	v_mov_b32_e32 v4, v11
	v_mov_b32_e32 v77, v5
	v_pk_mul_f32 v[4:5], v[16:17], v[4:5] op_sel_hi:[1,0]
	s_barrier
	v_pk_fma_f32 v[8:9], v[16:17], v[10:11], v[4:5] op_sel:[0,0,1] op_sel_hi:[1,1,0]
	v_pk_fma_f32 v[4:5], v[16:17], v[10:11], v[4:5] op_sel:[0,0,1] op_sel_hi:[1,0,0] neg_lo:[0,0,1] neg_hi:[0,0,1]
	v_pk_mul_f32 v[10:11], v[6:7], v[12:13] op_sel:[0,1]
	s_nop 0
	v_pk_fma_f32 v[16:17], v[6:7], v[12:13], v[10:11] op_sel:[0,0,1] op_sel_hi:[1,1,0]
	v_pk_fma_f32 v[6:7], v[6:7], v[12:13], v[10:11] op_sel:[0,0,1] op_sel_hi:[1,0,0] neg_lo:[0,0,1] neg_hi:[0,0,1]
	v_mov_b32_e32 v12, v28
	v_mov_b32_e32 v13, v25
	ds_write2_b64 v80, v[0:1], v[36:37] offset1:99
	v_mov_b32_e32 v0, v30
	v_mov_b32_e32 v1, v27
	;; [unrolled: 1-line block ×3, first 2 shown]
	v_pk_add_f32 v[4:5], v[64:65], v[76:77]
	v_mov_b32_e32 v25, v29
	ds_write2_b64 v87, v[12:13], v[0:1] offset0:41 offset1:140
	v_mov_b32_e32 v27, v31
	v_mov_b32_e32 v0, v32
	v_mov_b32_e32 v1, v21
	v_pk_add_f32 v[4:5], v[4:5], v[8:9]
	ds_write2_b64 v62, v[24:25], v[26:27] offset0:82 offset1:181
	ds_write_b64 v82, v[74:75]
	ds_write_b64 v82, v[0:1] offset:2376
	v_mov_b32_e32 v21, v33
	v_pk_add_f32 v[0:1], v[34:35], v[40:41]
	v_pk_add_f32 v[12:13], v[34:35], v[40:41] neg_lo:[0,1] neg_hi:[0,1]
	v_mov_b32_e32 v17, v7
	v_pk_mul_f32 v[6:7], v[18:19], v[38:39] op_sel_hi:[1,0]
	ds_write_b64 v82, v[20:21] offset:4752
	v_pk_fma_f32 v[0:1], v[0:1], 0.5, v[60:61] op_sel_hi:[1,0,1] neg_lo:[1,0,0] neg_hi:[1,0,0]
	v_pk_mul_f32 v[12:13], v[12:13], s[4:5] op_sel_hi:[1,0]
	ds_write2_b64 v68, v[22:23], v[4:5] offset0:123 offset1:222
	v_pk_add_f32 v[4:5], v[76:77], v[8:9]
	v_pk_add_f32 v[8:9], v[76:77], v[8:9] neg_lo:[0,1] neg_hi:[0,1]
	v_pk_fma_f32 v[10:11], v[18:19], v[14:15], v[6:7] op_sel:[0,0,1] op_sel_hi:[1,1,0]
	v_pk_fma_f32 v[6:7], v[18:19], v[14:15], v[6:7] op_sel:[0,0,1] op_sel_hi:[1,0,0] neg_lo:[0,0,1] neg_hi:[0,0,1]
	v_pk_add_f32 v[14:15], v[0:1], v[12:13] op_sel:[0,1] op_sel_hi:[1,0] neg_lo:[0,1] neg_hi:[0,1]
	v_pk_add_f32 v[0:1], v[0:1], v[12:13] op_sel:[0,1] op_sel_hi:[1,0]
	v_pk_fma_f32 v[4:5], v[4:5], 0.5, v[64:65] op_sel_hi:[1,0,1] neg_lo:[1,0,0] neg_hi:[1,0,0]
	v_pk_mul_f32 v[8:9], v[8:9], s[4:5] op_sel_hi:[1,0]
	v_mov_b32_e32 v12, v14
	v_mov_b32_e32 v13, v1
	;; [unrolled: 1-line block ×3, first 2 shown]
	v_pk_add_f32 v[14:15], v[4:5], v[8:9] op_sel:[0,1] op_sel_hi:[1,0] neg_lo:[0,1] neg_hi:[0,1]
	v_pk_add_f32 v[4:5], v[4:5], v[8:9] op_sel:[0,1] op_sel_hi:[1,0]
	v_mov_b32_e32 v11, v7
	v_pk_add_f32 v[6:7], v[70:71], v[16:17]
	v_mov_b32_e32 v8, v14
	v_mov_b32_e32 v9, v5
	;; [unrolled: 1-line block ×3, first 2 shown]
	v_pk_add_f32 v[6:7], v[6:7], v[10:11]
	ds_write2_b64 v2, v[12:13], v[8:9] offset0:36 offset1:135
	ds_write2_b64 v85, v[0:1], v[4:5] offset0:77 offset1:176
	ds_write_b64 v82, v[6:7] offset:7128
	v_pk_add_f32 v[0:1], v[16:17], v[10:11]
	v_pk_add_f32 v[4:5], v[16:17], v[10:11] neg_lo:[0,1] neg_hi:[0,1]
	v_pk_fma_f32 v[0:1], v[0:1], 0.5, v[70:71] op_sel_hi:[1,0,1] neg_lo:[1,0,0] neg_hi:[1,0,0]
	v_pk_mul_f32 v[4:5], v[4:5], s[4:5] op_sel_hi:[1,0]
	s_nop 0
	v_pk_add_f32 v[6:7], v[0:1], v[4:5] op_sel:[0,1] op_sel_hi:[1,0] neg_lo:[0,1] neg_hi:[0,1]
	v_pk_add_f32 v[0:1], v[0:1], v[4:5] op_sel:[0,1] op_sel_hi:[1,0]
	v_mov_b32_e32 v4, v6
	v_mov_b32_e32 v5, v1
	;; [unrolled: 1-line block ×3, first 2 shown]
	ds_write_b64 v82, v[0:1] offset:11880
	v_lshl_add_u64 v[0:1], v[50:51], 3, s[8:9]
	v_add_co_u32_e32 v0, vcc, s11, v0
	ds_write_b64 v82, v[4:5] offset:9504
	s_nop 0
	v_addc_co_u32_e32 v1, vcc, 0, v1, vcc
	s_waitcnt lgkmcnt(0)
	s_barrier
	global_load_dwordx2 v[16:17], v[0:1], off offset:2944
	v_lshl_add_u64 v[0:1], v[46:47], 3, s[8:9]
	v_add_co_u32_e32 v4, vcc, s11, v0
	s_nop 1
	v_addc_co_u32_e32 v5, vcc, 0, v1, vcc
	global_load_dwordx2 v[18:19], v[4:5], off offset:3736
	v_lshl_add_u64 v[4:5], v[54:55], 3, s[8:9]
	v_add_co_u32_e32 v4, vcc, s11, v4
	s_nop 1
	v_addc_co_u32_e32 v5, vcc, 0, v5, vcc
	;; [unrolled: 5-line block ×5, first 2 shown]
	global_load_dwordx2 v[26:27], v[4:5], off offset:2944
	v_add_co_u32_e32 v4, vcc, s13, v0
	s_nop 1
	v_addc_co_u32_e32 v5, vcc, 0, v1, vcc
	global_load_dwordx2 v[28:29], v[4:5], off offset:3600
	v_add_co_u32_e32 v0, vcc, s5, v0
	s_nop 1
	v_addc_co_u32_e32 v1, vcc, 0, v1, vcc
	global_load_dwordx2 v[30:31], v[0:1], off offset:296
	global_load_dwordx2 v[32:33], v[0:1], off offset:1088
	ds_read2_b64 v[4:7], v68 offset0:24 offset1:123
	ds_read2_b64 v[8:11], v72 offset0:94 offset1:193
	;; [unrolled: 1-line block ×3, first 2 shown]
	ds_read2_b64 v[12:15], v80 offset1:99
	s_waitcnt vmcnt(8) lgkmcnt(3)
	v_pk_mul_f32 v[34:35], v[16:17], v[6:7] op_sel:[0,1]
	s_nop 0
	v_pk_fma_f32 v[36:37], v[16:17], v[6:7], v[34:35] op_sel:[0,0,1] op_sel_hi:[1,1,0]
	v_pk_fma_f32 v[6:7], v[16:17], v[6:7], v[34:35] op_sel:[0,0,1] op_sel_hi:[1,0,0] neg_lo:[1,0,0] neg_hi:[1,0,0]
	s_nop 0
	v_mov_b32_e32 v37, v7
	s_waitcnt lgkmcnt(0)
	v_pk_add_f32 v[16:17], v[12:13], v[36:37] neg_lo:[0,1] neg_hi:[0,1]
	s_waitcnt vmcnt(7)
	v_pk_mul_f32 v[6:7], v[18:19], v[8:9] op_sel:[0,1]
	v_pk_fma_f32 v[34:35], v[12:13], 2.0, v[16:17] op_sel_hi:[1,0,1] neg_lo:[0,0,1] neg_hi:[0,0,1]
	v_pk_fma_f32 v[12:13], v[18:19], v[8:9], v[6:7] op_sel:[0,0,1] op_sel_hi:[1,1,0]
	v_pk_fma_f32 v[6:7], v[18:19], v[8:9], v[6:7] op_sel:[0,0,1] op_sel_hi:[1,0,0] neg_lo:[1,0,0] neg_hi:[1,0,0]
	s_nop 0
	v_mov_b32_e32 v13, v7
	v_pk_add_f32 v[18:19], v[14:15], v[12:13] neg_lo:[0,1] neg_hi:[0,1]
	s_waitcnt vmcnt(6)
	v_pk_mul_f32 v[6:7], v[20:21], v[10:11] op_sel:[0,1]
	v_pk_fma_f32 v[14:15], v[14:15], 2.0, v[18:19] op_sel_hi:[1,0,1] neg_lo:[0,0,1] neg_hi:[0,0,1]
	v_pk_fma_f32 v[8:9], v[20:21], v[10:11], v[6:7] op_sel:[0,0,1] op_sel_hi:[1,1,0]
	v_pk_fma_f32 v[6:7], v[20:21], v[10:11], v[6:7] op_sel:[0,0,1] op_sel_hi:[1,0,0] neg_lo:[1,0,0] neg_hi:[1,0,0]
	ds_read_b64 v[10:11], v82
	v_mov_b32_e32 v9, v7
	ds_read_b64 v[6:7], v81
	ds_read_b64 v[12:13], v83
	;; [unrolled: 1-line block ×3, first 2 shown]
	s_waitcnt lgkmcnt(3)
	v_pk_add_f32 v[36:37], v[10:11], v[8:9] neg_lo:[0,1] neg_hi:[0,1]
	s_waitcnt vmcnt(5)
	v_pk_mul_f32 v[8:9], v[22:23], v[0:1] op_sel:[0,1]
	v_pk_fma_f32 v[38:39], v[10:11], 2.0, v[36:37] op_sel_hi:[1,0,1] neg_lo:[0,0,1] neg_hi:[0,0,1]
	v_pk_fma_f32 v[10:11], v[22:23], v[0:1], v[8:9] op_sel:[0,0,1] op_sel_hi:[1,1,0]
	v_pk_fma_f32 v[0:1], v[22:23], v[0:1], v[8:9] op_sel:[0,0,1] op_sel_hi:[1,0,0] neg_lo:[1,0,0] neg_hi:[1,0,0]
	s_nop 0
	v_mov_b32_e32 v11, v1
	s_waitcnt lgkmcnt(2)
	v_pk_add_f32 v[22:23], v[6:7], v[10:11] neg_lo:[0,1] neg_hi:[0,1]
	s_waitcnt vmcnt(4)
	v_pk_mul_f32 v[0:1], v[2:3], v[24:25] op_sel:[0,1]
	v_pk_fma_f32 v[40:41], v[6:7], 2.0, v[22:23] op_sel_hi:[1,0,1] neg_lo:[0,0,1] neg_hi:[0,0,1]
	ds_read2_b64 v[6:9], v66 offset0:106 offset1:205
	v_pk_fma_f32 v[10:11], v[2:3], v[24:25], v[0:1] op_sel:[0,0,1] op_sel_hi:[1,1,0]
	v_pk_fma_f32 v[0:1], v[2:3], v[24:25], v[0:1] op_sel:[0,0,1] op_sel_hi:[1,0,0] neg_lo:[0,0,1] neg_hi:[0,0,1]
	s_nop 0
	v_mov_b32_e32 v11, v1
	s_waitcnt lgkmcnt(2)
	v_pk_add_f32 v[24:25], v[12:13], v[10:11] neg_lo:[0,1] neg_hi:[0,1]
	s_waitcnt vmcnt(3) lgkmcnt(0)
	v_pk_mul_f32 v[0:1], v[6:7], v[26:27] op_sel:[0,1]
	v_pk_fma_f32 v[42:43], v[12:13], 2.0, v[24:25] op_sel_hi:[1,0,1] neg_lo:[0,0,1] neg_hi:[0,0,1]
	ds_read2_b64 v[10:13], v86 offset0:48 offset1:147
	v_pk_fma_f32 v[2:3], v[6:7], v[26:27], v[0:1] op_sel:[0,0,1] op_sel_hi:[1,1,0]
	v_pk_fma_f32 v[0:1], v[6:7], v[26:27], v[0:1] op_sel:[0,0,1] op_sel_hi:[1,0,0] neg_lo:[0,0,1] neg_hi:[0,0,1]
	s_waitcnt vmcnt(2)
	v_pk_mul_f32 v[26:27], v[8:9], v[28:29] op_sel:[0,1]
	v_mov_b32_e32 v3, v1
	v_pk_add_f32 v[6:7], v[20:21], v[2:3] neg_lo:[0,1] neg_hi:[0,1]
	ds_read2_b64 v[0:3], v62 offset0:82 offset1:181
	v_pk_fma_f32 v[50:51], v[8:9], v[28:29], v[26:27] op_sel:[0,0,1] op_sel_hi:[1,1,0]
	v_pk_fma_f32 v[8:9], v[8:9], v[28:29], v[26:27] op_sel:[0,0,1] op_sel_hi:[1,0,0] neg_lo:[0,0,1] neg_hi:[0,0,1]
	s_waitcnt vmcnt(1) lgkmcnt(1)
	v_pk_mul_f32 v[26:27], v[10:11], v[30:31] op_sel:[0,1]
	v_mov_b32_e32 v51, v9
	v_pk_fma_f32 v[28:29], v[10:11], v[30:31], v[26:27] op_sel:[0,0,1] op_sel_hi:[1,1,0]
	v_pk_fma_f32 v[10:11], v[10:11], v[30:31], v[26:27] op_sel:[0,0,1] op_sel_hi:[1,0,0] neg_lo:[0,0,1] neg_hi:[0,0,1]
	s_waitcnt vmcnt(0)
	v_pk_mul_f32 v[26:27], v[12:13], v[32:33] op_sel:[0,1]
	v_mov_b32_e32 v29, v11
	s_waitcnt lgkmcnt(0)
	v_pk_add_f32 v[10:11], v[2:3], v[28:29] neg_lo:[0,1] neg_hi:[0,1]
	v_pk_fma_f32 v[28:29], v[12:13], v[32:33], v[26:27] op_sel:[0,0,1] op_sel_hi:[1,1,0]
	v_pk_fma_f32 v[12:13], v[12:13], v[32:33], v[26:27] op_sel:[0,0,1] op_sel_hi:[1,0,0] neg_lo:[0,0,1] neg_hi:[0,0,1]
	v_pk_add_f32 v[8:9], v[0:1], v[50:51] neg_lo:[0,1] neg_hi:[0,1]
	v_mov_b32_e32 v29, v13
	v_pk_add_f32 v[12:13], v[4:5], v[28:29] neg_lo:[0,1] neg_hi:[0,1]
	v_pk_fma_f32 v[20:21], v[20:21], 2.0, v[6:7] op_sel_hi:[1,0,1] neg_lo:[0,0,1] neg_hi:[0,0,1]
	v_pk_fma_f32 v[0:1], v[0:1], 2.0, v[8:9] op_sel_hi:[1,0,1] neg_lo:[0,0,1] neg_hi:[0,0,1]
	;; [unrolled: 1-line block ×4, first 2 shown]
	s_barrier
	ds_write2_b64 v80, v[34:35], v[14:15] offset1:99
	ds_write2_b64 v68, v[16:17], v[18:19] offset0:123 offset1:222
	ds_write_b64 v82, v[38:39]
	ds_write_b64 v82, v[36:37] offset:7128
	ds_write_b64 v81, v[40:41]
	ds_write_b64 v81, v[22:23] offset:7128
	;; [unrolled: 2-line block ×4, first 2 shown]
	ds_write2_b64 v62, v[0:1], v[2:3] offset0:82 offset1:181
	ds_write2_b64 v85, v[8:9], v[10:11] offset0:77 offset1:176
	ds_write_b64 v80, v[4:5] offset:6336
	ds_write_b64 v80, v[12:13] offset:13464
	s_waitcnt lgkmcnt(0)
	s_barrier
	s_and_saveexec_b64 s[4:5], s[0:1]
	s_cbranch_execz .LBB0_23
; %bb.22:
	v_mul_lo_u32 v0, s3, v48
	v_mul_lo_u32 v1, s2, v49
	v_mad_u64_u32 v[4:5], s[0:1], s2, v48, 0
	v_lshl_add_u32 v10, v46, 3, 0
	v_add3_u32 v5, v5, v1, v0
	ds_read2_b64 v[0:3], v10 offset1:99
	v_lshl_add_u64 v[4:5], v[4:5], 3, s[6:7]
	v_mov_b32_e32 v47, 0
	v_lshl_add_u64 v[8:9], v[44:45], 3, v[4:5]
	v_lshl_add_u64 v[4:5], v[46:47], 3, v[8:9]
	s_waitcnt lgkmcnt(0)
	global_store_dwordx2 v[4:5], v[0:1], off
	v_add_u32_e32 v4, 0x400, v10
	ds_read2_b64 v[4:7], v4 offset0:70 offset1:169
	v_add_u32_e32 v0, 0x63, v46
	v_mov_b32_e32 v1, v47
	v_lshl_add_u64 v[0:1], v[0:1], 3, v[8:9]
	global_store_dwordx2 v[0:1], v[2:3], off
	v_add_u32_e32 v0, 0xc6, v46
	v_mov_b32_e32 v1, v47
	v_lshl_add_u64 v[0:1], v[0:1], 3, v[8:9]
	s_waitcnt lgkmcnt(0)
	global_store_dwordx2 v[0:1], v[4:5], off
	v_add_u32_e32 v0, 0x129, v46
	v_mov_b32_e32 v1, v47
	v_lshl_add_u64 v[4:5], v[0:1], 3, v[8:9]
	v_add_u32_e32 v0, 0x800, v10
	ds_read2_b64 v[0:3], v0 offset0:140 offset1:239
	global_store_dwordx2 v[4:5], v[6:7], off
	v_add_u32_e32 v4, 0x18c, v46
	v_mov_b32_e32 v5, v47
	v_lshl_add_u64 v[4:5], v[4:5], 3, v[8:9]
	s_waitcnt lgkmcnt(0)
	global_store_dwordx2 v[4:5], v[0:1], off
	v_add_u32_e32 v4, 0x1000, v10
	ds_read2_b64 v[4:7], v4 offset0:82 offset1:181
	v_add_u32_e32 v0, 0x1ef, v46
	v_mov_b32_e32 v1, v47
	v_lshl_add_u64 v[0:1], v[0:1], 3, v[8:9]
	global_store_dwordx2 v[0:1], v[2:3], off
	v_add_u32_e32 v0, 0x252, v46
	v_mov_b32_e32 v1, v47
	v_lshl_add_u64 v[0:1], v[0:1], 3, v[8:9]
	s_waitcnt lgkmcnt(0)
	global_store_dwordx2 v[0:1], v[4:5], off
	v_add_u32_e32 v0, 0x2b5, v46
	v_mov_b32_e32 v1, v47
	v_lshl_add_u64 v[4:5], v[0:1], 3, v[8:9]
	v_add_u32_e32 v0, 0x1800, v10
	ds_read2_b64 v[0:3], v0 offset0:24 offset1:123
	global_store_dwordx2 v[4:5], v[6:7], off
	v_add_u32_e32 v4, 0x318, v46
	v_mov_b32_e32 v5, v47
	;; [unrolled: 22-line block ×4, first 2 shown]
	v_lshl_add_u64 v[4:5], v[4:5], 3, v[8:9]
	v_add_u32_e32 v46, 0x693, v46
	s_waitcnt lgkmcnt(0)
	global_store_dwordx2 v[4:5], v[0:1], off
	v_lshl_add_u64 v[0:1], v[46:47], 3, v[8:9]
	global_store_dwordx2 v[0:1], v[2:3], off
.LBB0_23:
	s_endpgm
	.section	.rodata,"a",@progbits
	.p2align	6, 0x0
	.amdhsa_kernel fft_rtc_back_len1782_factors_11_3_3_3_3_2_wgs_99_tpt_99_halfLds_sp_op_CI_CI_unitstride_sbrr_C2R_dirReg
		.amdhsa_group_segment_fixed_size 0
		.amdhsa_private_segment_fixed_size 0
		.amdhsa_kernarg_size 104
		.amdhsa_user_sgpr_count 2
		.amdhsa_user_sgpr_dispatch_ptr 0
		.amdhsa_user_sgpr_queue_ptr 0
		.amdhsa_user_sgpr_kernarg_segment_ptr 1
		.amdhsa_user_sgpr_dispatch_id 0
		.amdhsa_user_sgpr_kernarg_preload_length 0
		.amdhsa_user_sgpr_kernarg_preload_offset 0
		.amdhsa_user_sgpr_private_segment_size 0
		.amdhsa_uses_dynamic_stack 0
		.amdhsa_enable_private_segment 0
		.amdhsa_system_sgpr_workgroup_id_x 1
		.amdhsa_system_sgpr_workgroup_id_y 0
		.amdhsa_system_sgpr_workgroup_id_z 0
		.amdhsa_system_sgpr_workgroup_info 0
		.amdhsa_system_vgpr_workitem_id 0
		.amdhsa_next_free_vgpr 156
		.amdhsa_next_free_sgpr 40
		.amdhsa_accum_offset 156
		.amdhsa_reserve_vcc 1
		.amdhsa_float_round_mode_32 0
		.amdhsa_float_round_mode_16_64 0
		.amdhsa_float_denorm_mode_32 3
		.amdhsa_float_denorm_mode_16_64 3
		.amdhsa_dx10_clamp 1
		.amdhsa_ieee_mode 1
		.amdhsa_fp16_overflow 0
		.amdhsa_tg_split 0
		.amdhsa_exception_fp_ieee_invalid_op 0
		.amdhsa_exception_fp_denorm_src 0
		.amdhsa_exception_fp_ieee_div_zero 0
		.amdhsa_exception_fp_ieee_overflow 0
		.amdhsa_exception_fp_ieee_underflow 0
		.amdhsa_exception_fp_ieee_inexact 0
		.amdhsa_exception_int_div_zero 0
	.end_amdhsa_kernel
	.text
.Lfunc_end0:
	.size	fft_rtc_back_len1782_factors_11_3_3_3_3_2_wgs_99_tpt_99_halfLds_sp_op_CI_CI_unitstride_sbrr_C2R_dirReg, .Lfunc_end0-fft_rtc_back_len1782_factors_11_3_3_3_3_2_wgs_99_tpt_99_halfLds_sp_op_CI_CI_unitstride_sbrr_C2R_dirReg
                                        ; -- End function
	.section	.AMDGPU.csdata,"",@progbits
; Kernel info:
; codeLenInByte = 13988
; NumSgprs: 46
; NumVgprs: 156
; NumAgprs: 0
; TotalNumVgprs: 156
; ScratchSize: 0
; MemoryBound: 0
; FloatMode: 240
; IeeeMode: 1
; LDSByteSize: 0 bytes/workgroup (compile time only)
; SGPRBlocks: 5
; VGPRBlocks: 19
; NumSGPRsForWavesPerEU: 46
; NumVGPRsForWavesPerEU: 156
; AccumOffset: 156
; Occupancy: 3
; WaveLimiterHint : 1
; COMPUTE_PGM_RSRC2:SCRATCH_EN: 0
; COMPUTE_PGM_RSRC2:USER_SGPR: 2
; COMPUTE_PGM_RSRC2:TRAP_HANDLER: 0
; COMPUTE_PGM_RSRC2:TGID_X_EN: 1
; COMPUTE_PGM_RSRC2:TGID_Y_EN: 0
; COMPUTE_PGM_RSRC2:TGID_Z_EN: 0
; COMPUTE_PGM_RSRC2:TIDIG_COMP_CNT: 0
; COMPUTE_PGM_RSRC3_GFX90A:ACCUM_OFFSET: 38
; COMPUTE_PGM_RSRC3_GFX90A:TG_SPLIT: 0
	.text
	.p2alignl 6, 3212836864
	.fill 256, 4, 3212836864
	.type	__hip_cuid_48978b55d073054b,@object ; @__hip_cuid_48978b55d073054b
	.section	.bss,"aw",@nobits
	.globl	__hip_cuid_48978b55d073054b
__hip_cuid_48978b55d073054b:
	.byte	0                               ; 0x0
	.size	__hip_cuid_48978b55d073054b, 1

	.ident	"AMD clang version 19.0.0git (https://github.com/RadeonOpenCompute/llvm-project roc-6.4.0 25133 c7fe45cf4b819c5991fe208aaa96edf142730f1d)"
	.section	".note.GNU-stack","",@progbits
	.addrsig
	.addrsig_sym __hip_cuid_48978b55d073054b
	.amdgpu_metadata
---
amdhsa.kernels:
  - .agpr_count:     0
    .args:
      - .actual_access:  read_only
        .address_space:  global
        .offset:         0
        .size:           8
        .value_kind:     global_buffer
      - .offset:         8
        .size:           8
        .value_kind:     by_value
      - .actual_access:  read_only
        .address_space:  global
        .offset:         16
        .size:           8
        .value_kind:     global_buffer
      - .actual_access:  read_only
        .address_space:  global
        .offset:         24
        .size:           8
        .value_kind:     global_buffer
      - .actual_access:  read_only
        .address_space:  global
        .offset:         32
        .size:           8
        .value_kind:     global_buffer
      - .offset:         40
        .size:           8
        .value_kind:     by_value
      - .actual_access:  read_only
        .address_space:  global
        .offset:         48
        .size:           8
        .value_kind:     global_buffer
      - .actual_access:  read_only
        .address_space:  global
        .offset:         56
        .size:           8
        .value_kind:     global_buffer
      - .offset:         64
        .size:           4
        .value_kind:     by_value
      - .actual_access:  read_only
        .address_space:  global
        .offset:         72
        .size:           8
        .value_kind:     global_buffer
      - .actual_access:  read_only
        .address_space:  global
        .offset:         80
        .size:           8
        .value_kind:     global_buffer
      - .actual_access:  read_only
        .address_space:  global
        .offset:         88
        .size:           8
        .value_kind:     global_buffer
      - .actual_access:  write_only
        .address_space:  global
        .offset:         96
        .size:           8
        .value_kind:     global_buffer
    .group_segment_fixed_size: 0
    .kernarg_segment_align: 8
    .kernarg_segment_size: 104
    .language:       OpenCL C
    .language_version:
      - 2
      - 0
    .max_flat_workgroup_size: 99
    .name:           fft_rtc_back_len1782_factors_11_3_3_3_3_2_wgs_99_tpt_99_halfLds_sp_op_CI_CI_unitstride_sbrr_C2R_dirReg
    .private_segment_fixed_size: 0
    .sgpr_count:     46
    .sgpr_spill_count: 0
    .symbol:         fft_rtc_back_len1782_factors_11_3_3_3_3_2_wgs_99_tpt_99_halfLds_sp_op_CI_CI_unitstride_sbrr_C2R_dirReg.kd
    .uniform_work_group_size: 1
    .uses_dynamic_stack: false
    .vgpr_count:     156
    .vgpr_spill_count: 0
    .wavefront_size: 64
amdhsa.target:   amdgcn-amd-amdhsa--gfx950
amdhsa.version:
  - 1
  - 2
...

	.end_amdgpu_metadata
